;; amdgpu-corpus repo=ROCm/rocFFT kind=compiled arch=gfx1030 opt=O3
	.text
	.amdgcn_target "amdgcn-amd-amdhsa--gfx1030"
	.amdhsa_code_object_version 6
	.protected	bluestein_single_fwd_len1728_dim1_sp_op_CI_CI ; -- Begin function bluestein_single_fwd_len1728_dim1_sp_op_CI_CI
	.globl	bluestein_single_fwd_len1728_dim1_sp_op_CI_CI
	.p2align	8
	.type	bluestein_single_fwd_len1728_dim1_sp_op_CI_CI,@function
bluestein_single_fwd_len1728_dim1_sp_op_CI_CI: ; @bluestein_single_fwd_len1728_dim1_sp_op_CI_CI
; %bb.0:
	s_load_dwordx4 s[8:11], s[4:5], 0x28
	v_mul_u32_u24_e32 v1, 0x25f, v0
	v_mov_b32_e32 v133, 0
	s_mov_b32 s0, exec_lo
	v_lshrrev_b32_e32 v1, 16, v1
	v_add_nc_u32_e32 v132, s6, v1
	s_waitcnt lgkmcnt(0)
	v_cmpx_gt_u64_e64 s[8:9], v[132:133]
	s_cbranch_execz .LBB0_31
; %bb.1:
	s_clause 0x1
	s_load_dwordx4 s[0:3], s[4:5], 0x18
	s_load_dwordx2 s[16:17], s[4:5], 0x0
	v_mul_lo_u16 v1, 0x6c, v1
	v_sub_nc_u16 v41, v0, v1
	v_and_b32_e32 v165, 0xffff, v41
	v_lshlrev_b32_e32 v163, 3, v165
	v_or_b32_e32 v164, 0x480, v165
	s_waitcnt lgkmcnt(0)
	s_load_dwordx4 s[12:15], s[0:1], 0x0
	s_clause 0x2
	global_load_dwordx2 v[141:142], v163, s[16:17]
	global_load_dwordx2 v[133:134], v163, s[16:17] offset:864
	global_load_dwordx2 v[128:129], v163, s[16:17] offset:1728
	v_add_co_u32 v35, s0, s16, v163
	v_add_co_ci_u32_e64 v36, null, s17, 0, s0
	v_lshlrev_b32_e32 v86, 3, v164
	v_add_co_u32 v110, vcc_lo, 0x1000, v35
	v_add_co_ci_u32_e32 v111, vcc_lo, 0, v36, vcc_lo
	v_add_co_u32 v108, vcc_lo, 0x2000, v35
	v_add_co_ci_u32_e32 v109, vcc_lo, 0, v36, vcc_lo
	v_add_co_u32 v4, vcc_lo, 0x1800, v35
	v_add_co_ci_u32_e32 v5, vcc_lo, 0, v36, vcc_lo
	s_waitcnt lgkmcnt(0)
	v_mad_u64_u32 v[0:1], null, s14, v132, 0
	v_mad_u64_u32 v[2:3], null, s12, v165, 0
	s_mul_i32 s1, s13, 0x240
	s_mul_hi_u32 s6, s12, 0x240
	s_mul_i32 s0, s12, 0x240
	s_add_i32 s1, s6, s1
	s_mul_i32 s6, s13, 0xfffff160
	global_load_dwordx2 v[137:138], v86, s[16:17]
	v_mad_u64_u32 v[6:7], null, s15, v132, v[1:2]
	v_mad_u64_u32 v[9:10], null, s13, v165, v[3:4]
	v_add_co_u32 v7, vcc_lo, 0x2800, v35
	v_add_co_ci_u32_e32 v8, vcc_lo, 0, v36, vcc_lo
	v_mov_b32_e32 v1, v6
	s_lshl_b64 s[14:15], s[0:1], 3
	v_mov_b32_e32 v3, v9
	v_mad_u64_u32 v[9:10], null, s12, v164, 0
	v_lshlrev_b64 v[0:1], 3, v[0:1]
	s_sub_i32 s6, s6, s12
	v_lshlrev_b64 v[2:3], 3, v[2:3]
	s_mul_hi_u32 s0, s12, 0xfffffbec
	s_mul_i32 s1, s13, 0xfffffbec
	s_sub_i32 s7, s0, s12
	v_add_co_u32 v17, vcc_lo, s10, v0
	v_add_co_ci_u32_e32 v18, vcc_lo, s11, v1, vcc_lo
	v_mov_b32_e32 v6, v10
	v_add_co_u32 v0, vcc_lo, v17, v2
	v_add_co_ci_u32_e32 v1, vcc_lo, v18, v3, vcc_lo
	v_mad_u64_u32 v[13:14], null, s13, v164, v[6:7]
	v_add_co_u32 v2, vcc_lo, v0, s14
	v_add_co_ci_u32_e32 v3, vcc_lo, s15, v1, vcc_lo
	s_mul_i32 s0, s12, 0xfffffbec
	s_add_i32 s1, s7, s1
	v_mov_b32_e32 v10, v13
	v_mad_u64_u32 v[11:12], null, 0xfffff160, s12, v[2:3]
	s_lshl_b64 s[0:1], s[0:1], 3
	s_clause 0x3
	global_load_dwordx2 v[143:144], v[110:111], off offset:512
	global_load_dwordx2 v[139:140], v[110:111], off offset:1376
	;; [unrolled: 1-line block ×4, first 2 shown]
	v_lshlrev_b64 v[9:10], 3, v[9:10]
	global_load_dwordx2 v[19:20], v[0:1], off
	global_load_dwordx2 v[126:127], v[7:8], off offset:704
	v_add_nc_u32_e32 v42, 0x2400, v163
	v_add_nc_u32_e32 v12, s6, v12
	v_add_co_u32 v13, vcc_lo, v11, s14
	v_add_nc_u32_e32 v6, 0x400, v163
	v_add_co_ci_u32_e32 v14, vcc_lo, s15, v12, vcc_lo
	v_add_co_u32 v15, vcc_lo, v13, s14
	v_add_co_ci_u32_e32 v16, vcc_lo, s15, v14, vcc_lo
	v_add_co_u32 v9, vcc_lo, v17, v9
	;; [unrolled: 2-line block ×3, first 2 shown]
	v_add_co_ci_u32_e32 v18, vcc_lo, s1, v16, vcc_lo
	s_clause 0x1
	global_load_dwordx2 v[2:3], v[2:3], off
	global_load_dwordx2 v[9:10], v[9:10], off
	v_add_co_u32 v0, vcc_lo, v17, s14
	v_add_co_ci_u32_e32 v1, vcc_lo, s15, v18, vcc_lo
	global_load_dwordx2 v[11:12], v[11:12], off
	v_add_co_u32 v21, vcc_lo, v0, s14
	v_add_co_ci_u32_e32 v22, vcc_lo, s15, v1, vcc_lo
	v_add_co_u32 v23, vcc_lo, v21, s0
	v_add_co_ci_u32_e32 v24, vcc_lo, s1, v22, vcc_lo
	s_clause 0x1
	global_load_dwordx2 v[13:14], v[13:14], off
	global_load_dwordx2 v[15:16], v[15:16], off
	;; [unrolled: 1-line block ×6, first 2 shown]
	v_add_co_u32 v0, vcc_lo, v23, s14
	v_add_co_ci_u32_e32 v1, vcc_lo, s15, v24, vcc_lo
	v_add_co_u32 v23, vcc_lo, 0x800, v35
	v_add_co_ci_u32_e32 v24, vcc_lo, 0, v36, vcc_lo
	;; [unrolled: 2-line block ×3, first 2 shown]
	global_load_dwordx2 v[130:131], v[23:24], off offset:544
	v_add_co_u32 v31, vcc_lo, v29, s0
	v_add_co_ci_u32_e32 v32, vcc_lo, s1, v30, vcc_lo
	global_load_dwordx2 v[33:34], v[0:1], off
	global_load_dwordx2 v[116:117], v[4:5], off offset:1056
	global_load_dwordx2 v[29:30], v[29:30], off
	global_load_dwordx2 v[118:119], v[7:8], off offset:1568
	;; [unrolled: 2-line block ×3, first 2 shown]
	v_add_co_u32 v23, vcc_lo, v31, s14
	v_add_co_ci_u32_e32 v24, vcc_lo, s15, v32, vcc_lo
	v_add_co_u32 v112, vcc_lo, 0x3000, v35
	v_add_co_ci_u32_e32 v113, vcc_lo, 0, v36, vcc_lo
	;; [unrolled: 2-line block ×3, first 2 shown]
	global_load_dwordx2 v[23:24], v[23:24], off
	s_clause 0x1
	global_load_dwordx2 v[120:121], v[4:5], off offset:1920
	global_load_dwordx2 v[122:123], v[112:113], off offset:384
	global_load_dwordx2 v[31:32], v[0:1], off
	s_load_dwordx2 s[6:7], s[4:5], 0x38
	s_load_dwordx4 s[8:11], s[2:3], 0x0
	v_add_nc_u32_e32 v5, 0x1400, v163
	v_add_nc_u32_e32 v4, 0x1800, v163
	v_cmp_gt_u16_e32 vcc_lo, 36, v41
	s_waitcnt vmcnt(21)
	v_mul_f32_e32 v35, v20, v142
	v_mul_f32_e32 v36, v19, v142
	v_fmac_f32_e32 v35, v19, v141
	v_fma_f32 v36, v20, v141, -v36
	s_waitcnt vmcnt(19)
	v_mul_f32_e32 v37, v3, v144
	v_mul_f32_e32 v38, v2, v144
	s_waitcnt vmcnt(18)
	v_mul_f32_e32 v39, v10, v138
	v_mul_f32_e32 v40, v9, v138
	v_fmac_f32_e32 v37, v2, v143
	v_fma_f32 v38, v3, v143, -v38
	s_waitcnt vmcnt(17)
	v_mul_f32_e32 v2, v12, v134
	v_mul_f32_e32 v3, v11, v134
	v_fmac_f32_e32 v39, v9, v137
	v_fma_f32 v40, v10, v137, -v40
	;; [unrolled: 5-line block ×6, first 2 shown]
	ds_write_b64 v163, v[37:38] offset:4608
	ds_write_b64 v163, v[39:40] offset:9216
	v_fmac_f32_e32 v15, v21, v126
	v_fma_f32 v16, v22, v126, -v16
	ds_write2_b64 v163, v[35:36], v[2:3] offset1:108
	v_mul_f32_e32 v2, v18, v129
	v_mul_f32_e32 v3, v17, v129
	ds_write2_b64 v5, v[9:10], v[13:14] offset0:44 offset1:152
	ds_write2_b64 v42, v[11:12], v[15:16] offset0:108 offset1:216
	s_waitcnt vmcnt(4)
	v_mul_f32_e32 v13, v8, v115
	v_mul_f32_e32 v14, v7, v115
	v_fmac_f32_e32 v2, v17, v128
	v_mul_f32_e32 v17, v28, v131
	v_fma_f32 v3, v18, v128, -v3
	v_mul_f32_e32 v18, v27, v131
	v_mul_f32_e32 v9, v34, v117
	;; [unrolled: 1-line block ×3, first 2 shown]
	v_fmac_f32_e32 v13, v7, v114
	v_mul_f32_e32 v11, v30, v119
	v_mul_f32_e32 v12, v29, v119
	s_waitcnt vmcnt(2)
	v_mul_f32_e32 v7, v24, v121
	v_mul_f32_e32 v16, v23, v121
	s_waitcnt vmcnt(0)
	v_mul_f32_e32 v15, v32, v123
	v_mul_f32_e32 v19, v31, v123
	v_fmac_f32_e32 v17, v27, v130
	v_fma_f32 v18, v28, v130, -v18
	v_fma_f32 v14, v8, v114, -v14
	v_fmac_f32_e32 v9, v33, v116
	v_fma_f32 v10, v34, v116, -v10
	v_fmac_f32_e32 v7, v23, v120
	;; [unrolled: 2-line block ×4, first 2 shown]
	v_fma_f32 v16, v32, v122, -v19
	v_add_nc_u32_e32 v19, 0x2c00, v163
	ds_write2_b64 v6, v[2:3], v[17:18] offset0:88 offset1:196
	ds_write_b64 v163, v[13:14] offset:3456
	ds_write2_b64 v4, v[9:10], v[7:8] offset0:132 offset1:240
	ds_write2_b64 v19, v[11:12], v[15:16] offset0:68 offset1:176
	s_and_saveexec_b32 s2, vcc_lo
	s_cbranch_execz .LBB0_3
; %bb.2:
	v_add_co_u32 v0, s0, v0, s0
	v_add_co_ci_u32_e64 v1, s0, s1, v1, s0
	global_load_dwordx2 v[7:8], v[110:111], off offset:224
	v_add_nc_u32_e32 v17, 0xe0, v163
	global_load_dwordx2 v[2:3], v[0:1], off
	v_add_co_u32 v0, s0, v0, s14
	v_add_co_ci_u32_e64 v1, s0, s15, v1, s0
	v_add_co_u32 v9, s0, v0, s14
	v_add_co_ci_u32_e64 v10, s0, s15, v1, s0
	global_load_dwordx2 v[0:1], v[0:1], off
	s_clause 0x1
	global_load_dwordx2 v[11:12], v[108:109], off offset:736
	global_load_dwordx2 v[13:14], v[112:113], off offset:1248
	global_load_dwordx2 v[9:10], v[9:10], off
	s_waitcnt vmcnt(4)
	v_mul_f32_e32 v15, v3, v8
	v_mul_f32_e32 v16, v2, v8
	v_fmac_f32_e32 v15, v2, v7
	v_fma_f32 v16, v3, v7, -v16
	s_waitcnt vmcnt(2)
	v_mul_f32_e32 v2, v1, v12
	v_mul_f32_e32 v12, v0, v12
	s_waitcnt vmcnt(0)
	v_mul_f32_e32 v8, v10, v14
	v_mul_f32_e32 v14, v9, v14
	v_fmac_f32_e32 v2, v0, v11
	v_fma_f32 v3, v1, v11, -v12
	v_fmac_f32_e32 v8, v9, v13
	v_fma_f32 v9, v10, v13, -v14
	ds_write2st64_b64 v17, v[15:16], v[2:3] offset0:8 offset1:17
	ds_write_b64 v163, v[8:9] offset:13536
.LBB0_3:
	s_or_b32 exec_lo, exec_lo, s2
	v_add_nc_u32_e32 v0, 0xc00, v163
	v_add_nc_u32_e32 v7, 0x2000, v163
	;; [unrolled: 1-line block ×3, first 2 shown]
	s_waitcnt lgkmcnt(0)
	s_barrier
	buffer_gl0_inv
	ds_read2_b64 v[12:15], v163 offset1:108
	ds_read2_b64 v[0:3], v0 offset0:48 offset1:192
	ds_read2_b64 v[28:31], v7 offset0:128 offset1:236
	;; [unrolled: 1-line block ×6, first 2 shown]
	ds_read_b64 v[34:35], v163 offset:12672
                                        ; implicit-def: $vgpr4
                                        ; implicit-def: $vgpr32
	s_and_saveexec_b32 s0, vcc_lo
	s_cbranch_execz .LBB0_5
; %bb.4:
	v_add_nc_u32_e32 v4, 0xe0, v163
	ds_read2st64_b64 v[4:7], v4 offset0:8 offset1:17
	ds_read_b64 v[32:33], v163 offset:13536
.LBB0_5:
	s_or_b32 exec_lo, exec_lo, s0
	v_add_co_u32 v85, s0, 0x6c, v165
	v_add_co_ci_u32_e64 v36, null, 0, 0, s0
	s_waitcnt lgkmcnt(5)
	v_add_f32_e32 v36, v2, v28
	v_add_f32_e32 v37, v12, v2
	v_sub_f32_e32 v39, v3, v29
	v_sub_f32_e32 v2, v2, v28
	s_load_dwordx2 s[2:3], s[4:5], 0x8
	v_fma_f32 v12, -0.5, v36, v12
	v_add_f32_e32 v36, v37, v28
	v_add_f32_e32 v37, v3, v29
	;; [unrolled: 1-line block ×3, first 2 shown]
	v_add_co_u32 v84, null, 0xd8, v165
	v_fmamk_f32 v38, v39, 0x3f5db3d7, v12
	v_fmac_f32_e32 v12, 0xbf5db3d7, v39
	s_waitcnt lgkmcnt(0)
	v_add_f32_e32 v39, v24, v30
	v_fma_f32 v13, -0.5, v37, v13
	v_add_f32_e32 v37, v3, v29
	v_add_f32_e32 v3, v14, v24
	v_sub_f32_e32 v29, v25, v31
	v_fma_f32 v14, -0.5, v39, v14
	v_fmamk_f32 v39, v2, 0xbf5db3d7, v13
	v_fmac_f32_e32 v13, 0x3f5db3d7, v2
	v_add_f32_e32 v28, v3, v30
	v_add_f32_e32 v2, v25, v31
	;; [unrolled: 1-line block ×3, first 2 shown]
	v_fmamk_f32 v40, v29, 0x3f5db3d7, v14
	v_fmac_f32_e32 v14, 0xbf5db3d7, v29
	v_add_f32_e32 v25, v26, v20
	v_fmac_f32_e32 v15, -0.5, v2
	v_sub_f32_e32 v2, v24, v30
	v_add_f32_e32 v29, v3, v31
	v_add_f32_e32 v3, v8, v26
	v_fma_f32 v8, -0.5, v25, v8
	v_sub_f32_e32 v25, v27, v21
	v_fmamk_f32 v41, v2, 0xbf5db3d7, v15
	v_fmac_f32_e32 v15, 0x3f5db3d7, v2
	v_add_f32_e32 v24, v3, v20
	v_add_f32_e32 v2, v27, v21
	;; [unrolled: 1-line block ×3, first 2 shown]
	v_fmamk_f32 v30, v25, 0x3f5db3d7, v8
	v_fmac_f32_e32 v8, 0xbf5db3d7, v25
	v_add_f32_e32 v27, v16, v22
	v_fma_f32 v9, -0.5, v2, v9
	v_sub_f32_e32 v2, v26, v20
	v_add_f32_e32 v25, v3, v21
	v_add_f32_e32 v3, v10, v16
	v_fma_f32 v10, -0.5, v27, v10
	v_sub_f32_e32 v21, v17, v23
	v_fmamk_f32 v31, v2, 0xbf5db3d7, v9
	v_fmac_f32_e32 v9, 0x3f5db3d7, v2
	v_add_f32_e32 v20, v3, v22
	v_add_f32_e32 v2, v17, v23
	;; [unrolled: 1-line block ×4, first 2 shown]
	v_fmamk_f32 v26, v21, 0x3f5db3d7, v10
	v_fmac_f32_e32 v10, 0xbf5db3d7, v21
	v_fmac_f32_e32 v11, -0.5, v2
	v_sub_f32_e32 v2, v16, v22
	v_add_f32_e32 v21, v3, v23
	v_add_f32_e32 v3, v0, v18
	v_fma_f32 v0, -0.5, v17, v0
	v_sub_f32_e32 v16, v19, v35
	v_fmamk_f32 v27, v2, 0xbf5db3d7, v11
	v_fmac_f32_e32 v11, 0x3f5db3d7, v2
	v_add_f32_e32 v2, v3, v34
	v_add_f32_e32 v3, v19, v35
	v_fmamk_f32 v56, v16, 0x3f5db3d7, v0
	v_add_f32_e32 v17, v1, v19
	v_fmac_f32_e32 v0, 0xbf5db3d7, v16
	v_add_f32_e32 v16, v6, v32
	v_add_f32_e32 v19, v7, v33
	v_fmac_f32_e32 v1, -0.5, v3
	v_add_f32_e32 v3, v17, v35
	v_add_f32_e32 v17, v4, v6
	v_fmac_f32_e32 v4, -0.5, v16
	v_sub_f32_e32 v16, v7, v33
	v_add_f32_e32 v7, v5, v7
	v_fmac_f32_e32 v5, -0.5, v19
	v_sub_f32_e32 v6, v6, v32
	v_add_nc_u32_e32 v42, 0x144, v165
	v_add_nc_u32_e32 v43, 0x1b0, v165
	v_add_f32_e32 v59, v7, v33
	v_mul_u32_u24_e32 v7, 3, v84
	v_fmamk_f32 v61, v6, 0xbf5db3d7, v5
	v_fmac_f32_e32 v5, 0x3f5db3d7, v6
	v_mul_u32_u24_e32 v6, 3, v85
	v_add_co_u32 v44, null, 0x21c, v165
	v_sub_f32_e32 v18, v18, v34
	v_add_f32_e32 v58, v17, v32
	v_fmamk_f32 v60, v16, 0x3f5db3d7, v4
	v_fmac_f32_e32 v4, 0xbf5db3d7, v16
	v_mul_lo_u16 v16, v165, 3
	v_mov_b32_e32 v17, 3
	v_lshlrev_b32_e32 v170, 3, v6
	v_mul_u32_u24_e32 v6, 3, v42
	v_lshlrev_b32_e32 v172, 3, v7
	v_mul_u32_u24_e32 v7, 3, v43
	v_fmamk_f32 v57, v18, 0xbf5db3d7, v1
	v_fmac_f32_e32 v1, 0x3f5db3d7, v18
	v_lshlrev_b32_sdwa v169, v17, v16 dst_sel:DWORD dst_unused:UNUSED_PAD src0_sel:DWORD src1_sel:WORD_0
	v_lshlrev_b32_e32 v174, 3, v6
	v_lshlrev_b32_e32 v171, 3, v7
	v_mul_u32_u24_e32 v173, 3, v44
	s_barrier
	buffer_gl0_inv
	ds_write2_b64 v169, v[36:37], v[38:39] offset1:1
	ds_write_b64 v169, v[12:13] offset:16
	ds_write2_b64 v170, v[28:29], v[40:41] offset1:1
	ds_write_b64 v170, v[14:15] offset:16
	;; [unrolled: 2-line block ×5, first 2 shown]
	s_and_saveexec_b32 s0, vcc_lo
	s_cbranch_execz .LBB0_7
; %bb.6:
	v_lshlrev_b32_e32 v6, 3, v173
	ds_write2_b64 v6, v[58:59], v[60:61] offset1:1
	ds_write_b64 v6, v[4:5] offset:16
.LBB0_7:
	s_or_b32 exec_lo, exec_lo, s0
	v_add_nc_u32_e32 v6, 0x800, v163
	v_add_nc_u32_e32 v7, 0x1000, v163
	;; [unrolled: 1-line block ×5, first 2 shown]
	s_waitcnt lgkmcnt(0)
	s_barrier
	buffer_gl0_inv
	ds_read2_b64 v[32:35], v163 offset1:108
	ds_read2_b64 v[52:55], v6 offset0:32 offset1:140
	ds_read2_b64 v[48:51], v7 offset0:64 offset1:172
	;; [unrolled: 1-line block ×5, first 2 shown]
	v_cmp_gt_u16_e64 s0, 0x48, v165
	s_and_saveexec_b32 s1, s0
	s_cbranch_execz .LBB0_9
; %bb.8:
	ds_read_b64 v[2:3], v163 offset:1728
	ds_read_b64 v[56:57], v163 offset:4032
	;; [unrolled: 1-line block ×6, first 2 shown]
.LBB0_9:
	s_or_b32 exec_lo, exec_lo, s1
	v_and_b32_e32 v6, 0xff, v165
	v_and_b32_e32 v7, 0xff, v85
	v_mul_lo_u16 v8, 0xab, v6
	v_mul_lo_u16 v9, 0xab, v7
	v_lshrrev_b16 v64, 9, v8
	v_mov_b32_e32 v8, 0xaaab
	v_lshrrev_b16 v65, 9, v9
	v_mul_lo_u16 v10, v64, 3
	v_mul_u32_u24_sdwa v8, v84, v8 dst_sel:DWORD dst_unused:UNUSED_PAD src0_sel:WORD_0 src1_sel:DWORD
	v_sub_nc_u16 v9, v165, v10
	v_lshrrev_b32_e32 v66, 17, v8
	v_mul_lo_u16 v8, v65, 3
	v_and_b32_e32 v67, 0xff, v9
	v_mul_lo_u16 v10, v66, 3
	v_sub_nc_u16 v11, v85, v8
	v_mad_u64_u32 v[8:9], null, v67, 40, s[2:3]
	v_sub_nc_u16 v68, v84, v10
	v_and_b32_e32 v69, 0xff, v11
	v_mul_lo_u16 v12, v68, 40
	v_mad_u64_u32 v[10:11], null, v69, 40, s[2:3]
	s_clause 0x1
	global_load_dwordx4 v[28:31], v[8:9], off
	global_load_dwordx4 v[24:27], v[8:9], off offset:16
	v_and_b32_e32 v12, 0xffff, v12
	s_clause 0x2
	global_load_dwordx2 v[151:152], v[8:9], off offset:32
	global_load_dwordx4 v[20:23], v[10:11], off
	global_load_dwordx4 v[16:19], v[10:11], off offset:16
	v_mad_u16 v166, v66, 18, v68
	v_add_co_u32 v62, s1, s2, v12
	v_add_co_ci_u32_e64 v63, null, s3, 0, s1
	s_clause 0x3
	global_load_dwordx2 v[149:150], v[10:11], off offset:32
	global_load_dwordx4 v[12:15], v[62:63], off
	global_load_dwordx4 v[8:11], v[62:63], off offset:16
	global_load_dwordx2 v[147:148], v[62:63], off offset:32
	v_mov_b32_e32 v62, 18
	s_waitcnt vmcnt(0) lgkmcnt(0)
	s_barrier
	buffer_gl0_inv
	v_mul_u32_u24_sdwa v63, v64, v62 dst_sel:DWORD dst_unused:UNUSED_PAD src0_sel:WORD_0 src1_sel:DWORD
	v_mul_u32_u24_sdwa v62, v65, v62 dst_sel:DWORD dst_unused:UNUSED_PAD src0_sel:WORD_0 src1_sel:DWORD
	v_add_lshl_u32 v168, v63, v67, 3
	v_add_lshl_u32 v167, v62, v69, 3
	v_mul_f32_e32 v62, v53, v29
	v_mul_f32_e32 v63, v52, v29
	;; [unrolled: 1-line block ×29, first 2 shown]
	v_fma_f32 v52, v52, v28, -v62
	v_fmac_f32_e32 v63, v53, v28
	v_fma_f32 v48, v48, v30, -v64
	v_fmac_f32_e32 v65, v49, v30
	;; [unrolled: 2-line block ×6, first 2 shown]
	v_fma_f32 v37, v50, v22, -v73
	v_fma_f32 v45, v46, v16, -v75
	v_fmac_f32_e32 v77, v47, v16
	v_fmac_f32_e32 v81, v39, v149
	v_fmac_f32_e32 v88, v1, v14
	v_fma_f32 v1, v58, v8, -v89
	v_fmac_f32_e32 v90, v59, v8
	v_fma_f32 v4, v4, v147, -v93
	v_fmac_f32_e32 v94, v5, v147
	v_mul_f32_e32 v92, v60, v11
	v_fma_f32 v42, v42, v18, -v78
	v_fma_f32 v38, v38, v149, -v80
	v_fmac_f32_e32 v74, v51, v22
	v_fmac_f32_e32 v79, v43, v18
	v_fma_f32 v39, v56, v12, -v82
	v_fmac_f32_e32 v83, v57, v12
	v_fma_f32 v0, v0, v14, -v87
	v_fma_f32 v43, v60, v10, -v91
	v_add_f32_e32 v5, v32, v48
	v_add_f32_e32 v46, v48, v40
	v_sub_f32_e32 v47, v65, v69
	v_add_f32_e32 v49, v33, v65
	v_add_f32_e32 v50, v65, v69
	v_add_f32_e32 v51, v52, v44
	v_add_f32_e32 v53, v44, v36
	v_sub_f32_e32 v54, v67, v71
	v_add_f32_e32 v55, v63, v67
	v_add_f32_e32 v56, v67, v71
	;; [unrolled: 5-line block ×3, first 2 shown]
	v_add_f32_e32 v77, v1, v4
	v_add_f32_e32 v82, v90, v94
	v_fmac_f32_e32 v92, v61, v10
	v_add_f32_e32 v58, v37, v42
	v_add_f32_e32 v64, v45, v38
	v_sub_f32_e32 v48, v48, v40
	v_sub_f32_e32 v44, v44, v36
	v_add_f32_e32 v60, v35, v74
	v_add_f32_e32 v61, v74, v79
	v_sub_f32_e32 v45, v45, v38
	v_add_f32_e32 v68, v2, v0
	v_add_f32_e32 v70, v0, v43
	v_sub_f32_e32 v75, v0, v43
	v_add_f32_e32 v0, v39, v1
	v_sub_f32_e32 v78, v90, v94
	;; [unrolled: 2-line block ×3, first 2 shown]
	v_add_f32_e32 v5, v5, v40
	v_fma_f32 v46, -0.5, v46, v32
	v_add_f32_e32 v32, v49, v69
	v_fma_f32 v49, -0.5, v50, v33
	v_add_f32_e32 v33, v51, v36
	v_fmac_f32_e32 v52, -0.5, v53
	v_add_f32_e32 v36, v55, v71
	v_fmac_f32_e32 v63, -0.5, v56
	v_add_f32_e32 v40, v57, v42
	v_add_f32_e32 v38, v62, v38
	v_fmac_f32_e32 v39, -0.5, v77
	v_fmac_f32_e32 v83, -0.5, v82
	v_sub_f32_e32 v59, v74, v79
	v_add_f32_e32 v73, v3, v88
	v_add_f32_e32 v74, v88, v92
	v_fma_f32 v34, -0.5, v58, v34
	v_fmac_f32_e32 v41, -0.5, v64
	v_fmac_f32_e32 v76, -0.5, v67
	v_sub_f32_e32 v37, v37, v42
	v_add_f32_e32 v42, v60, v79
	v_fmac_f32_e32 v35, -0.5, v61
	v_add_f32_e32 v50, v66, v81
	v_add_f32_e32 v53, v0, v4
	v_fmamk_f32 v56, v47, 0x3f5db3d7, v46
	v_fmac_f32_e32 v46, 0xbf5db3d7, v47
	v_fmamk_f32 v47, v48, 0xbf5db3d7, v49
	v_fmac_f32_e32 v49, 0x3f5db3d7, v48
	;; [unrolled: 2-line block ×3, first 2 shown]
	v_fmamk_f32 v54, v44, 0xbf5db3d7, v63
	v_add_f32_e32 v0, v5, v33
	v_add_f32_e32 v1, v32, v36
	v_sub_f32_e32 v4, v5, v33
	v_sub_f32_e32 v5, v32, v36
	v_add_f32_e32 v32, v40, v38
	v_sub_f32_e32 v36, v40, v38
	v_fmamk_f32 v38, v78, 0x3f5db3d7, v39
	v_fmac_f32_e32 v39, 0xbf5db3d7, v78
	v_fmamk_f32 v40, v87, 0xbf5db3d7, v83
	v_fmac_f32_e32 v83, 0x3f5db3d7, v87
	v_sub_f32_e32 v72, v88, v92
	v_add_f32_e32 v43, v68, v43
	v_fmac_f32_e32 v2, -0.5, v70
	v_fmac_f32_e32 v63, 0x3f5db3d7, v44
	v_add_f32_e32 v51, v73, v92
	v_fmac_f32_e32 v3, -0.5, v74
	v_add_f32_e32 v55, v80, v94
	v_fmamk_f32 v57, v59, 0x3f5db3d7, v34
	v_fmac_f32_e32 v34, 0xbf5db3d7, v59
	v_fmamk_f32 v44, v65, 0x3f5db3d7, v41
	v_fmamk_f32 v59, v45, 0xbf5db3d7, v76
	v_fmac_f32_e32 v41, 0xbf5db3d7, v65
	v_fmac_f32_e32 v76, 0x3f5db3d7, v45
	v_fmamk_f32 v58, v37, 0xbf5db3d7, v35
	v_fmac_f32_e32 v35, 0x3f5db3d7, v37
	v_add_f32_e32 v33, v42, v50
	v_sub_f32_e32 v37, v42, v50
	v_mul_f32_e32 v42, 0x3f5db3d7, v54
	v_mul_f32_e32 v45, 0xbf5db3d7, v48
	;; [unrolled: 1-line block ×3, first 2 shown]
	v_mul_f32_e32 v65, -0.5, v39
	v_mul_f32_e32 v66, 0xbf5db3d7, v38
	v_mul_f32_e32 v67, -0.5, v83
	v_fmamk_f32 v60, v72, 0x3f5db3d7, v2
	v_fmac_f32_e32 v2, 0xbf5db3d7, v72
	v_add_f32_e32 v72, v43, v53
	v_sub_f32_e32 v74, v43, v53
	v_mul_f32_e32 v43, -0.5, v52
	v_mul_f32_e32 v50, -0.5, v63
	v_fmamk_f32 v61, v75, 0xbf5db3d7, v3
	v_fmac_f32_e32 v3, 0x3f5db3d7, v75
	v_add_f32_e32 v73, v51, v55
	v_sub_f32_e32 v75, v51, v55
	v_mul_f32_e32 v51, 0x3f5db3d7, v59
	v_mul_f32_e32 v55, 0xbf5db3d7, v44
	v_mul_f32_e32 v53, -0.5, v41
	v_mul_f32_e32 v62, -0.5, v76
	v_fmac_f32_e32 v42, 0.5, v48
	v_fmac_f32_e32 v45, 0.5, v54
	;; [unrolled: 1-line block ×3, first 2 shown]
	v_fmac_f32_e32 v65, 0x3f5db3d7, v83
	v_fmac_f32_e32 v66, 0.5, v40
	v_fmac_f32_e32 v67, 0xbf5db3d7, v39
	v_fmac_f32_e32 v43, 0x3f5db3d7, v63
	;; [unrolled: 1-line block ×3, first 2 shown]
	v_fmac_f32_e32 v51, 0.5, v44
	v_fmac_f32_e32 v55, 0.5, v59
	v_fmac_f32_e32 v53, 0x3f5db3d7, v76
	v_fmac_f32_e32 v62, 0xbf5db3d7, v41
	v_add_f32_e32 v38, v56, v42
	v_add_f32_e32 v39, v47, v45
	;; [unrolled: 1-line block ×6, first 2 shown]
	v_sub_f32_e32 v80, v60, v64
	v_sub_f32_e32 v82, v2, v65
	;; [unrolled: 1-line block ×4, first 2 shown]
	v_add_f32_e32 v40, v46, v43
	v_add_f32_e32 v41, v49, v50
	v_sub_f32_e32 v42, v56, v42
	v_sub_f32_e32 v44, v46, v43
	;; [unrolled: 1-line block ×4, first 2 shown]
	v_add_f32_e32 v46, v57, v51
	v_add_f32_e32 v47, v58, v55
	;; [unrolled: 1-line block ×4, first 2 shown]
	v_sub_f32_e32 v50, v57, v51
	v_sub_f32_e32 v34, v34, v53
	;; [unrolled: 1-line block ×4, first 2 shown]
	ds_write2_b64 v168, v[0:1], v[38:39] offset1:3
	ds_write2_b64 v168, v[40:41], v[4:5] offset0:6 offset1:9
	ds_write2_b64 v168, v[42:43], v[44:45] offset0:12 offset1:15
	ds_write2_b64 v167, v[32:33], v[46:47] offset1:3
	ds_write2_b64 v167, v[48:49], v[36:37] offset0:6 offset1:9
	ds_write2_b64 v167, v[50:51], v[34:35] offset0:12 offset1:15
	s_and_saveexec_b32 s1, s0
	s_cbranch_execz .LBB0_11
; %bb.10:
	v_mov_b32_e32 v0, 3
	v_lshlrev_b32_sdwa v0, v0, v166 dst_sel:DWORD dst_unused:UNUSED_PAD src0_sel:DWORD src1_sel:WORD_0
	ds_write2_b64 v0, v[72:73], v[76:77] offset1:3
	ds_write2_b64 v0, v[78:79], v[74:75] offset0:6 offset1:9
	ds_write2_b64 v0, v[80:81], v[82:83] offset0:12 offset1:15
.LBB0_11:
	s_or_b32 exec_lo, exec_lo, s1
	v_add_nc_u32_e32 v0, 0x800, v163
	v_add_nc_u32_e32 v1, 0x1000, v163
	;; [unrolled: 1-line block ×5, first 2 shown]
	s_waitcnt lgkmcnt(0)
	s_barrier
	buffer_gl0_inv
	ds_read2_b64 v[48:51], v163 offset1:108
	ds_read2_b64 v[68:71], v0 offset0:32 offset1:140
	ds_read2_b64 v[64:67], v1 offset0:64 offset1:172
	;; [unrolled: 1-line block ×5, first 2 shown]
	s_and_saveexec_b32 s1, s0
	s_cbranch_execz .LBB0_13
; %bb.12:
	ds_read_b64 v[72:73], v163 offset:1728
	ds_read_b64 v[76:77], v163 offset:4032
	;; [unrolled: 1-line block ×6, first 2 shown]
.LBB0_13:
	s_or_b32 exec_lo, exec_lo, s1
	v_mul_lo_u16 v0, v6, 57
	v_mov_b32_e32 v3, 0xe38f
	v_lshrrev_b16 v87, 10, v0
	v_mul_lo_u16 v0, v7, 57
	v_mul_u32_u24_sdwa v4, v84, v3 dst_sel:DWORD dst_unused:UNUSED_PAD src0_sel:WORD_0 src1_sel:DWORD
	v_mul_lo_u16 v1, v87, 18
	v_lshrrev_b16 v88, 10, v0
	v_lshrrev_b32_e32 v95, 20, v4
	v_sub_nc_u16 v0, v165, v1
	v_mul_lo_u16 v1, v88, 18
	v_and_b32_e32 v89, 0xff, v0
	v_sub_nc_u16 v2, v85, v1
	v_mad_u64_u32 v[0:1], null, v89, 40, s[2:3]
	v_and_b32_e32 v90, 0xff, v2
	v_mad_u64_u32 v[2:3], null, v90, 40, s[2:3]
	s_clause 0x3
	global_load_dwordx4 v[44:47], v[0:1], off offset:120
	global_load_dwordx4 v[40:43], v[0:1], off offset:136
	global_load_dwordx2 v[155:156], v[0:1], off offset:152
	global_load_dwordx4 v[36:39], v[2:3], off offset:120
	v_mul_lo_u16 v0, v95, 18
	s_clause 0x1
	global_load_dwordx4 v[32:35], v[2:3], off offset:136
	global_load_dwordx2 v[153:154], v[2:3], off offset:152
	v_sub_nc_u16 v96, v84, v0
	v_mul_lo_u16 v0, v96, 40
	v_and_b32_e32 v0, 0xffff, v0
	v_add_co_u32 v84, s1, s2, v0
	v_add_co_ci_u32_e64 v85, null, s3, 0, s1
	s_clause 0x2
	global_load_dwordx4 v[4:7], v[84:85], off offset:120
	global_load_dwordx4 v[0:3], v[84:85], off offset:136
	global_load_dwordx2 v[145:146], v[84:85], off offset:152
	v_mov_b32_e32 v84, 0x6c
	s_waitcnt vmcnt(0) lgkmcnt(0)
	s_barrier
	buffer_gl0_inv
	v_mul_u32_u24_sdwa v85, v87, v84 dst_sel:DWORD dst_unused:UNUSED_PAD src0_sel:WORD_0 src1_sel:DWORD
	v_mul_u32_u24_sdwa v84, v88, v84 dst_sel:DWORD dst_unused:UNUSED_PAD src0_sel:WORD_0 src1_sel:DWORD
	v_add_lshl_u32 v176, v85, v89, 3
	v_add_lshl_u32 v175, v84, v90, 3
	v_mul_f32_e32 v84, v69, v45
	v_mul_f32_e32 v85, v68, v45
	;; [unrolled: 1-line block ×20, first 2 shown]
	v_fma_f32 v84, v68, v44, -v84
	v_fmac_f32_e32 v85, v69, v44
	v_fma_f32 v64, v64, v46, -v87
	v_fmac_f32_e32 v88, v65, v46
	;; [unrolled: 2-line block ×6, first 2 shown]
	v_fma_f32 v57, v66, v38, -v99
	v_fma_f32 v61, v62, v32, -v101
	v_fmac_f32_e32 v102, v63, v32
	v_fma_f32 v63, v54, v153, -v105
	v_fmac_f32_e32 v106, v55, v153
	v_mul_f32_e32 v66, v75, v1
	v_mul_f32_e32 v56, v74, v1
	;; [unrolled: 1-line block ×4, first 2 shown]
	v_fmac_f32_e32 v100, v67, v38
	v_fma_f32 v62, v58, v34, -v103
	v_fmac_f32_e32 v104, v59, v34
	v_mul_f32_e32 v58, v77, v5
	v_mul_f32_e32 v52, v76, v5
	v_add_f32_e32 v70, v48, v64
	v_add_f32_e32 v71, v64, v65
	v_sub_f32_e32 v89, v88, v92
	v_add_f32_e32 v91, v49, v88
	v_add_f32_e32 v88, v88, v92
	;; [unrolled: 1-line block ×4, first 2 shown]
	v_sub_f32_e32 v99, v90, v94
	v_add_f32_e32 v101, v85, v90
	v_add_f32_e32 v90, v90, v94
	v_sub_f32_e32 v103, v60, v68
	v_add_f32_e32 v160, v87, v61
	v_add_f32_e32 v161, v61, v63
	;; [unrolled: 3-line block ×3, first 2 shown]
	v_sub_f32_e32 v178, v61, v63
	v_fma_f32 v60, v74, v0, -v66
	v_fmac_f32_e32 v56, v75, v0
	v_fma_f32 v61, v82, v145, -v69
	v_fmac_f32_e32 v54, v83, v145
	v_mul_f32_e32 v59, v79, v7
	v_mul_f32_e32 v55, v78, v7
	;; [unrolled: 1-line block ×4, first 2 shown]
	v_sub_f32_e32 v64, v64, v65
	v_add_f32_e32 v105, v50, v57
	v_add_f32_e32 v107, v57, v62
	v_sub_f32_e32 v157, v100, v104
	v_add_f32_e32 v158, v51, v100
	v_add_f32_e32 v100, v100, v104
	v_sub_f32_e32 v159, v57, v62
	v_fma_f32 v57, v76, v4, -v58
	v_fmac_f32_e32 v52, v77, v4
	v_add_f32_e32 v65, v70, v65
	v_fma_f32 v71, -0.5, v71, v48
	v_add_f32_e32 v48, v91, v92
	v_fma_f32 v88, -0.5, v88, v49
	v_add_f32_e32 v49, v93, v68
	v_fmac_f32_e32 v84, -0.5, v97
	v_add_f32_e32 v66, v101, v94
	v_fmac_f32_e32 v85, -0.5, v90
	v_fmac_f32_e32 v87, -0.5, v161
	;; [unrolled: 1-line block ×3, first 2 shown]
	v_add_f32_e32 v82, v60, v61
	v_add_f32_e32 v90, v56, v54
	v_fma_f32 v59, v78, v6, -v59
	v_fmac_f32_e32 v55, v79, v6
	v_fma_f32 v58, v80, v2, -v67
	v_fmac_f32_e32 v53, v81, v2
	v_fma_f32 v92, -0.5, v107, v50
	v_fmac_f32_e32 v51, -0.5, v100
	v_sub_f32_e32 v83, v56, v54
	v_sub_f32_e32 v91, v60, v61
	v_fmamk_f32 v93, v89, 0x3f5db3d7, v71
	v_fmac_f32_e32 v71, 0xbf5db3d7, v89
	v_fmamk_f32 v89, v64, 0xbf5db3d7, v88
	v_fmac_f32_e32 v88, 0x3f5db3d7, v64
	v_fmamk_f32 v64, v99, 0x3f5db3d7, v84
	v_fmamk_f32 v94, v103, 0xbf5db3d7, v85
	v_add_f32_e32 v67, v65, v49
	v_add_f32_e32 v68, v48, v66
	v_sub_f32_e32 v69, v65, v49
	v_sub_f32_e32 v70, v48, v66
	v_fmamk_f32 v65, v162, 0x3f5db3d7, v87
	v_fmamk_f32 v66, v178, 0xbf5db3d7, v98
	v_fma_f32 v100, -0.5, v82, v57
	v_fma_f32 v101, -0.5, v90, v52
	v_fmac_f32_e32 v84, 0xbf5db3d7, v99
	v_fmac_f32_e32 v85, 0x3f5db3d7, v103
	v_add_f32_e32 v62, v105, v62
	v_add_f32_e32 v50, v158, v104
	;; [unrolled: 1-line block ×6, first 2 shown]
	v_fmamk_f32 v97, v157, 0x3f5db3d7, v92
	v_fmac_f32_e32 v92, 0xbf5db3d7, v157
	v_mul_f32_e32 v82, 0x3f5db3d7, v94
	v_mul_f32_e32 v102, 0xbf5db3d7, v64
	;; [unrolled: 1-line block ×4, first 2 shown]
	v_fmamk_f32 v157, v83, 0x3f5db3d7, v100
	v_fmac_f32_e32 v100, 0xbf5db3d7, v83
	v_fmamk_f32 v158, v91, 0xbf5db3d7, v101
	v_fmac_f32_e32 v101, 0x3f5db3d7, v91
	v_mul_f32_e32 v90, -0.5, v84
	v_mul_f32_e32 v103, -0.5, v85
	v_fmac_f32_e32 v87, 0xbf5db3d7, v162
	v_fmac_f32_e32 v98, 0x3f5db3d7, v178
	v_sub_f32_e32 v79, v55, v53
	v_sub_f32_e32 v81, v59, v58
	v_add_f32_e32 v74, v62, v63
	v_add_f32_e32 v75, v50, v77
	v_sub_f32_e32 v76, v62, v63
	v_sub_f32_e32 v77, v50, v77
	v_fma_f32 v48, -0.5, v78, v72
	v_fma_f32 v50, -0.5, v80, v73
	v_fmac_f32_e32 v82, 0.5, v64
	v_fmac_f32_e32 v102, 0.5, v94
	;; [unrolled: 1-line block ×4, first 2 shown]
	v_mul_f32_e32 v64, 0x3f5db3d7, v158
	v_mul_f32_e32 v63, -0.5, v100
	v_mul_f32_e32 v65, 0xbf5db3d7, v157
	v_mul_f32_e32 v66, -0.5, v101
	v_fmac_f32_e32 v90, 0x3f5db3d7, v85
	v_fmac_f32_e32 v103, 0xbf5db3d7, v84
	v_mul_f32_e32 v105, -0.5, v87
	v_mul_f32_e32 v107, -0.5, v98
	v_fmamk_f32 v49, v79, 0x3f5db3d7, v48
	v_fmac_f32_e32 v48, 0xbf5db3d7, v79
	v_fmamk_f32 v62, v81, 0xbf5db3d7, v50
	v_fmac_f32_e32 v50, 0x3f5db3d7, v81
	v_add_f32_e32 v78, v93, v82
	v_add_f32_e32 v79, v89, v102
	v_fmac_f32_e32 v64, 0.5, v157
	v_fmac_f32_e32 v63, 0x3f5db3d7, v101
	v_fmac_f32_e32 v65, 0.5, v158
	v_fmac_f32_e32 v66, 0xbf5db3d7, v100
	v_fmamk_f32 v99, v159, 0xbf5db3d7, v51
	v_add_f32_e32 v80, v71, v90
	v_add_f32_e32 v81, v88, v103
	v_fmac_f32_e32 v51, 0x3f5db3d7, v159
	v_fmac_f32_e32 v105, 0x3f5db3d7, v98
	v_fmac_f32_e32 v107, 0xbf5db3d7, v87
	v_sub_f32_e32 v82, v93, v82
	v_sub_f32_e32 v84, v71, v90
	;; [unrolled: 1-line block ×4, first 2 shown]
	ds_write2_b64 v176, v[67:68], v[78:79] offset1:18
	ds_write2_b64 v176, v[80:81], v[69:70] offset0:36 offset1:54
	v_sub_f32_e32 v78, v49, v64
	v_sub_f32_e32 v159, v48, v63
	;; [unrolled: 1-line block ×4, first 2 shown]
	v_mad_u16 v177, 0x6c, v95, v96
	v_add_f32_e32 v87, v97, v104
	v_add_f32_e32 v88, v99, v106
	;; [unrolled: 1-line block ×4, first 2 shown]
	v_sub_f32_e32 v91, v97, v104
	v_sub_f32_e32 v93, v92, v105
	;; [unrolled: 1-line block ×4, first 2 shown]
	ds_write2_b64 v176, v[82:83], v[84:85] offset0:72 offset1:90
	ds_write2_b64 v175, v[74:75], v[87:88] offset1:18
	ds_write2_b64 v175, v[89:90], v[76:77] offset0:36 offset1:54
	ds_write2_b64 v175, v[91:92], v[93:94] offset0:72 offset1:90
	s_and_saveexec_b32 s1, s0
	s_cbranch_execz .LBB0_15
; %bb.14:
	v_add_f32_e32 v51, v73, v55
	v_add_f32_e32 v52, v52, v56
	;; [unrolled: 1-line block ×4, first 2 shown]
	v_mov_b32_e32 v59, 3
	v_add_f32_e32 v53, v51, v53
	v_add_f32_e32 v57, v52, v54
	;; [unrolled: 1-line block ×6, first 2 shown]
	v_sub_f32_e32 v52, v53, v57
	v_add_f32_e32 v56, v53, v57
	v_sub_f32_e32 v51, v55, v58
	v_add_f32_e32 v53, v49, v64
	v_add_f32_e32 v55, v55, v58
	v_lshlrev_b32_sdwa v57, v59, v177 dst_sel:DWORD dst_unused:UNUSED_PAD src0_sel:DWORD src1_sel:WORD_0
	v_add_f32_e32 v49, v48, v63
	ds_write2_b64 v57, v[55:56], v[53:54] offset1:18
	ds_write2_b64 v57, v[49:50], v[51:52] offset0:36 offset1:54
	ds_write2_b64 v57, v[78:79], v[159:160] offset0:72 offset1:90
.LBB0_15:
	s_or_b32 exec_lo, exec_lo, s1
	v_mad_u64_u32 v[76:77], null, 0x78, v165, s[2:3]
	s_waitcnt lgkmcnt(0)
	s_barrier
	buffer_gl0_inv
	v_add_nc_u32_e32 v87, 0x400, v163
	v_add_nc_u32_e32 v94, 0xc00, v163
	;; [unrolled: 1-line block ×3, first 2 shown]
	s_clause 0x7
	global_load_dwordx4 v[72:75], v[76:77], off offset:840
	global_load_dwordx4 v[64:67], v[76:77], off offset:856
	global_load_dwordx4 v[56:59], v[76:77], off offset:872
	global_load_dwordx4 v[48:51], v[76:77], off offset:888
	global_load_dwordx4 v[68:71], v[76:77], off offset:904
	global_load_dwordx4 v[60:63], v[76:77], off offset:920
	global_load_dwordx4 v[52:55], v[76:77], off offset:936
	global_load_dwordx2 v[157:158], v[76:77], off offset:952
	v_add_nc_u32_e32 v92, 0x1800, v163
	v_add_nc_u32_e32 v95, 0x2000, v163
	;; [unrolled: 1-line block ×4, first 2 shown]
	ds_read2_b64 v[80:83], v163 offset1:108
	ds_read2_b64 v[96:99], v87 offset0:88 offset1:196
	ds_read2_b64 v[100:103], v94 offset0:48 offset1:156
	;; [unrolled: 1-line block ×7, first 2 shown]
	v_lshlrev_b32_e32 v204, 3, v165
	s_add_u32 s12, s16, 0x3600
	s_addc_u32 s13, s17, 0
	v_add_nc_u32_e32 v222, 0x2400, v163
	v_add_nc_u32_e32 v223, 0x800, v163
	;; [unrolled: 1-line block ×3, first 2 shown]
	s_waitcnt vmcnt(7) lgkmcnt(7)
	v_mul_f32_e32 v76, v83, v73
	v_mul_f32_e32 v77, v82, v73
	s_waitcnt lgkmcnt(6)
	v_mul_f32_e32 v84, v97, v75
	v_mul_f32_e32 v85, v96, v75
	s_waitcnt vmcnt(6)
	v_mul_f32_e32 v90, v99, v65
	v_mul_f32_e32 v91, v98, v65
	s_waitcnt lgkmcnt(5)
	v_mul_f32_e32 v161, v101, v67
	v_mul_f32_e32 v162, v100, v67
	s_waitcnt vmcnt(5)
	;; [unrolled: 6-line block ×7, first 2 shown]
	v_mul_f32_e32 v215, v193, v158
	v_mul_f32_e32 v216, v192, v158
	v_fma_f32 v76, v82, v72, -v76
	v_fmac_f32_e32 v77, v83, v72
	v_fma_f32 v82, v96, v74, -v84
	v_fmac_f32_e32 v85, v97, v74
	;; [unrolled: 2-line block ×15, first 2 shown]
	v_sub_f32_e32 v98, v80, v98
	v_sub_f32_e32 v106, v81, v201
	;; [unrolled: 1-line block ×16, first 2 shown]
	v_fma_f32 v80, v80, 2.0, -v98
	v_fma_f32 v81, v81, 2.0, -v106
	;; [unrolled: 1-line block ×14, first 2 shown]
	v_sub_f32_e32 v107, v98, v107
	v_add_f32_e32 v102, v106, v102
	v_sub_f32_e32 v178, v100, v178
	v_add_f32_e32 v104, v161, v104
	;; [unrolled: 2-line block ×4, first 2 shown]
	v_fma_f32 v76, v76, 2.0, -v99
	v_fma_f32 v83, v83, 2.0, -v101
	v_sub_f32_e32 v84, v80, v84
	v_sub_f32_e32 v162, v81, v162
	v_fma_f32 v98, v98, 2.0, -v107
	v_fma_f32 v106, v106, 2.0, -v102
	v_sub_f32_e32 v96, v82, v96
	v_sub_f32_e32 v183, v85, v183
	v_fma_f32 v100, v100, 2.0, -v178
	v_fma_f32 v161, v161, 2.0, -v104
	v_sub_f32_e32 v184, v77, v184
	v_fma_f32 v99, v99, 2.0, -v180
	v_fma_f32 v179, v179, 2.0, -v103
	;; [unrolled: 3-line block ×3, first 2 shown]
	v_fmamk_f32 v186, v178, 0x3f3504f3, v107
	v_fmamk_f32 v187, v104, 0x3f3504f3, v102
	v_sub_f32_e32 v90, v76, v90
	v_sub_f32_e32 v97, v83, v97
	v_fmamk_f32 v188, v182, 0x3f3504f3, v180
	v_fmamk_f32 v189, v105, 0x3f3504f3, v103
	v_fma_f32 v190, v80, 2.0, -v84
	v_fma_f32 v191, v81, 2.0, -v162
	;; [unrolled: 1-line block ×6, first 2 shown]
	v_fmamk_f32 v192, v100, 0xbf3504f3, v98
	v_fmamk_f32 v193, v161, 0xbf3504f3, v106
	v_fmac_f32_e32 v186, 0xbf3504f3, v104
	v_fmac_f32_e32 v187, 0x3f3504f3, v178
	v_fmamk_f32 v104, v101, 0xbf3504f3, v99
	v_fmamk_f32 v178, v181, 0xbf3504f3, v179
	v_fma_f32 v82, v76, 2.0, -v90
	v_fma_f32 v76, v83, 2.0, -v97
	v_add_f32_e32 v194, v162, v96
	v_add_f32_e32 v195, v184, v97
	v_fmac_f32_e32 v188, 0xbf3504f3, v105
	v_fmac_f32_e32 v189, 0x3f3504f3, v182
	v_sub_f32_e32 v105, v190, v80
	v_sub_f32_e32 v182, v191, v81
	v_fmac_f32_e32 v192, 0xbf3504f3, v161
	v_fmac_f32_e32 v193, 0x3f3504f3, v100
	v_sub_f32_e32 v96, v85, v77
	v_fmac_f32_e32 v104, 0xbf3504f3, v181
	v_fmac_f32_e32 v178, 0x3f3504f3, v101
	v_sub_f32_e32 v183, v84, v183
	v_sub_f32_e32 v185, v90, v185
	v_fma_f32 v197, v162, 2.0, -v194
	v_sub_f32_e32 v91, v82, v76
	v_fma_f32 v161, v184, 2.0, -v195
	v_fma_f32 v162, v180, 2.0, -v188
	;; [unrolled: 1-line block ×14, first 2 shown]
	v_fmamk_f32 v80, v185, 0x3f3504f3, v183
	v_fma_f32 v98, v82, 2.0, -v91
	v_sub_f32_e32 v99, v181, v100
	v_fmamk_f32 v100, v191, 0xbf6c835e, v184
	v_fmamk_f32 v101, v179, 0xbf6c835e, v190
	;; [unrolled: 1-line block ×6, first 2 shown]
	v_sub_f32_e32 v90, v105, v96
	v_fmamk_f32 v96, v104, 0x3ec3ef15, v192
	v_fmamk_f32 v97, v178, 0x3ec3ef15, v193
	;; [unrolled: 1-line block ×5, first 2 shown]
	v_add_f32_e32 v91, v182, v91
	v_fmac_f32_e32 v80, 0xbf3504f3, v195
	v_sub_f32_e32 v98, v180, v98
	v_fmac_f32_e32 v100, 0xbec3ef15, v179
	v_fmac_f32_e32 v101, 0x3ec3ef15, v191
	;; [unrolled: 1-line block ×11, first 2 shown]
	v_fma_f32 v103, v182, 2.0, -v91
	v_fma_f32 v104, v183, 2.0, -v80
	;; [unrolled: 1-line block ×16, first 2 shown]
	ds_write2_b64 v163, v[161:162], v[182:183] offset1:108
	ds_write2_b64 v87, v[178:179], v[180:181] offset0:88 offset1:196
	ds_write2_b64 v94, v[102:103], v[184:185] offset0:48 offset1:156
	;; [unrolled: 1-line block ×7, first 2 shown]
	s_waitcnt lgkmcnt(0)
	s_barrier
	buffer_gl0_inv
	s_clause 0x1
	global_load_dwordx2 v[90:91], v204, s[12:13]
	global_load_dwordx2 v[161:162], v204, s[12:13] offset:864
	v_add_co_u32 v85, s1, s12, v204
	v_add_co_ci_u32_e64 v101, null, s13, 0, s1
	v_add_co_u32 v82, s2, 0x3000, v85
	v_add_co_ci_u32_e64 v83, s2, 0, v101, s2
	v_add_co_u32 v80, s1, 0x1000, v85
	v_add_co_u32 v84, s3, 0x2000, v85
	global_load_dwordx2 v[194:195], v[82:83], off offset:384
	v_add_co_ci_u32_e64 v81, s1, 0, v101, s1
	v_add_co_u32 v96, s2, 0x1800, v85
	v_add_co_u32 v98, s4, 0x2800, v85
	global_load_dwordx2 v[196:197], v[80:81], off offset:512
	v_add_co_u32 v100, s1, 0x800, v85
	v_add_co_ci_u32_e64 v85, s3, 0, v101, s3
	v_add_co_ci_u32_e64 v97, s2, 0, v101, s2
	s_clause 0x1
	global_load_dwordx2 v[198:199], v86, s[12:13]
	global_load_dwordx2 v[200:201], v[80:81], off offset:1376
	v_add_co_ci_u32_e64 v99, s2, 0, v101, s4
	s_clause 0x1
	global_load_dwordx2 v[202:203], v[84:85], off offset:1888
	global_load_dwordx2 v[204:205], v204, s[12:13] offset:1728
	v_add_co_ci_u32_e64 v101, s1, 0, v101, s1
	s_clause 0x6
	global_load_dwordx2 v[206:207], v[96:97], off offset:192
	global_load_dwordx2 v[208:209], v[98:99], off offset:704
	;; [unrolled: 1-line block ×7, first 2 shown]
	ds_read2_b64 v[96:99], v163 offset1:108
	ds_read_b64 v[220:221], v163 offset:12672
	s_waitcnt vmcnt(14) lgkmcnt(1)
	v_mul_f32_e32 v86, v97, v91
	v_mul_f32_e32 v101, v96, v91
	s_waitcnt vmcnt(13)
	v_mul_f32_e32 v91, v98, v162
	v_fma_f32 v100, v96, v90, -v86
	v_fmac_f32_e32 v101, v97, v90
	v_add_nc_u32_e32 v86, 0x1400, v163
	v_mul_f32_e32 v90, v99, v162
	v_fmac_f32_e32 v91, v99, v161
	ds_write_b64 v163, v[100:101]
	ds_read2_b64 v[100:103], v94 offset0:48 offset1:192
	ds_read2_b64 v[104:107], v95 offset0:128 offset1:236
	;; [unrolled: 1-line block ×6, first 2 shown]
	s_waitcnt vmcnt(12) lgkmcnt(7)
	v_mul_f32_e32 v96, v221, v195
	v_mul_f32_e32 v97, v220, v195
	v_fma_f32 v90, v98, v161, -v90
	v_fma_f32 v96, v220, v194, -v96
	v_fmac_f32_e32 v97, v221, v194
	s_waitcnt vmcnt(11) lgkmcnt(5)
	v_mul_f32_e32 v98, v103, v197
	v_mul_f32_e32 v99, v102, v197
	s_waitcnt vmcnt(9) lgkmcnt(3)
	v_mul_f32_e32 v194, v179, v201
	v_mul_f32_e32 v195, v178, v201
	v_mul_f32_e32 v161, v105, v199
	v_mul_f32_e32 v162, v104, v199
	s_waitcnt vmcnt(7) lgkmcnt(2)
	v_mul_f32_e32 v221, v183, v205
	v_mul_f32_e32 v199, v182, v205
	v_mul_f32_e32 v220, v107, v203
	v_mul_f32_e32 v197, v106, v203
	s_waitcnt vmcnt(5) lgkmcnt(1)
	v_mul_f32_e32 v226, v187, v209
	v_mul_f32_e32 v203, v186, v209
	v_mul_f32_e32 v225, v181, v207
	v_mul_f32_e32 v201, v180, v207
	s_waitcnt vmcnt(3) lgkmcnt(0)
	v_mul_f32_e32 v228, v191, v213
	v_mul_f32_e32 v207, v190, v213
	v_mul_f32_e32 v227, v185, v211
	v_mul_f32_e32 v205, v184, v211
	s_waitcnt vmcnt(2)
	v_mul_f32_e32 v229, v189, v215
	v_mul_f32_e32 v209, v188, v215
	s_waitcnt vmcnt(1)
	;; [unrolled: 3-line block ×3, first 2 shown]
	v_mul_f32_e32 v217, v193, v219
	v_mul_f32_e32 v213, v192, v219
	v_fma_f32 v98, v102, v196, -v98
	v_fmac_f32_e32 v99, v103, v196
	v_fma_f32 v194, v178, v200, -v194
	v_fmac_f32_e32 v195, v179, v200
	;; [unrolled: 2-line block ×12, first 2 shown]
	ds_write2_b64 v89, v[98:99], v[194:195] offset0:64 offset1:172
	ds_write2_b64 v163, v[90:91], v[198:199] offset0:108 offset1:216
	;; [unrolled: 1-line block ×7, first 2 shown]
	s_and_saveexec_b32 s1, vcc_lo
	s_cbranch_execz .LBB0_17
; %bb.16:
	s_clause 0x2
	global_load_dwordx2 v[88:89], v[80:81], off offset:224
	global_load_dwordx2 v[84:85], v[84:85], off offset:736
	;; [unrolled: 1-line block ×3, first 2 shown]
	v_add_nc_u32_e32 v100, 0xe0, v163
	ds_read2st64_b64 v[80:83], v100 offset0:8 offset1:17
	ds_read_b64 v[96:97], v163 offset:13536
	s_waitcnt vmcnt(2) lgkmcnt(1)
	v_mul_f32_e32 v98, v81, v89
	v_mul_f32_e32 v99, v80, v89
	s_waitcnt vmcnt(1)
	v_mul_f32_e32 v101, v83, v85
	v_mul_f32_e32 v89, v82, v85
	s_waitcnt vmcnt(0) lgkmcnt(0)
	v_mul_f32_e32 v102, v97, v91
	v_mul_f32_e32 v85, v96, v91
	v_fma_f32 v98, v80, v88, -v98
	v_fmac_f32_e32 v99, v81, v88
	v_fma_f32 v88, v82, v84, -v101
	v_fmac_f32_e32 v89, v83, v84
	v_fma_f32 v84, v96, v90, -v102
	v_fmac_f32_e32 v85, v97, v90
	ds_write2st64_b64 v100, v[98:99], v[88:89] offset0:8 offset1:17
	ds_write_b64 v163, v[84:85] offset:13536
.LBB0_17:
	s_or_b32 exec_lo, exec_lo, s1
	s_waitcnt lgkmcnt(0)
	s_barrier
	buffer_gl0_inv
	ds_read2_b64 v[88:91], v163 offset1:108
	ds_read2_b64 v[80:83], v94 offset0:48 offset1:192
	ds_read2_b64 v[104:107], v95 offset0:128 offset1:236
	;; [unrolled: 1-line block ×6, first 2 shown]
	ds_read_b64 v[161:162], v163 offset:12672
	s_and_saveexec_b32 s1, vcc_lo
	s_cbranch_execz .LBB0_19
; %bb.18:
	v_add_nc_u32_e32 v76, 0xe0, v163
	ds_read2st64_b64 v[76:79], v76 offset0:8 offset1:17
	ds_read_b64 v[159:160], v163 offset:13536
.LBB0_19:
	s_or_b32 exec_lo, exec_lo, s1
	s_waitcnt lgkmcnt(5)
	v_add_f32_e32 v178, v82, v104
	v_add_f32_e32 v179, v88, v82
	v_sub_f32_e32 v180, v83, v105
	v_add_f32_e32 v181, v83, v105
	v_add_f32_e32 v83, v89, v83
	v_fma_f32 v88, -0.5, v178, v88
	v_sub_f32_e32 v178, v82, v104
	v_add_f32_e32 v82, v179, v104
	s_waitcnt lgkmcnt(4)
	v_add_f32_e32 v179, v100, v106
	v_fma_f32 v89, -0.5, v181, v89
	v_fmamk_f32 v104, v180, 0xbf5db3d7, v88
	v_fmac_f32_e32 v88, 0x3f5db3d7, v180
	v_add_f32_e32 v180, v90, v100
	v_add_f32_e32 v181, v101, v107
	v_fma_f32 v90, -0.5, v179, v90
	v_sub_f32_e32 v179, v101, v107
	v_add_f32_e32 v101, v91, v101
	v_add_f32_e32 v83, v83, v105
	v_fmamk_f32 v105, v178, 0x3f5db3d7, v89
	v_fmac_f32_e32 v89, 0xbf5db3d7, v178
	v_add_f32_e32 v178, v180, v106
	v_fmac_f32_e32 v91, -0.5, v181
	v_sub_f32_e32 v106, v100, v106
	v_fmamk_f32 v100, v179, 0xbf5db3d7, v90
	v_fmac_f32_e32 v90, 0x3f5db3d7, v179
	v_add_f32_e32 v179, v101, v107
	s_waitcnt lgkmcnt(2)
	v_add_f32_e32 v107, v102, v96
	v_fmamk_f32 v101, v106, 0x3f5db3d7, v91
	v_add_f32_e32 v180, v84, v102
	v_fmac_f32_e32 v91, 0xbf5db3d7, v106
	v_add_f32_e32 v106, v103, v97
	v_fma_f32 v84, -0.5, v107, v84
	v_sub_f32_e32 v107, v103, v97
	v_add_f32_e32 v103, v85, v103
	v_add_f32_e32 v180, v180, v96
	v_fma_f32 v85, -0.5, v106, v85
	v_sub_f32_e32 v102, v102, v96
	v_fmamk_f32 v96, v107, 0xbf5db3d7, v84
	v_fmac_f32_e32 v84, 0x3f5db3d7, v107
	v_add_f32_e32 v181, v103, v97
	s_waitcnt lgkmcnt(1)
	v_add_f32_e32 v103, v92, v98
	v_add_f32_e32 v106, v86, v92
	;; [unrolled: 1-line block ×3, first 2 shown]
	v_fmamk_f32 v97, v102, 0x3f5db3d7, v85
	v_fmac_f32_e32 v85, 0xbf5db3d7, v102
	v_fma_f32 v86, -0.5, v103, v86
	v_sub_f32_e32 v103, v93, v99
	v_add_f32_e32 v102, v106, v98
	v_add_f32_e32 v93, v87, v93
	v_fmac_f32_e32 v87, -0.5, v107
	v_sub_f32_e32 v98, v92, v98
	v_fmamk_f32 v92, v103, 0xbf5db3d7, v86
	v_fmac_f32_e32 v86, 0x3f5db3d7, v103
	v_add_f32_e32 v103, v93, v99
	s_waitcnt lgkmcnt(0)
	v_add_f32_e32 v99, v94, v161
	v_fmamk_f32 v93, v98, 0x3f5db3d7, v87
	v_fmac_f32_e32 v87, 0xbf5db3d7, v98
	v_add_f32_e32 v98, v95, v162
	v_add_f32_e32 v106, v80, v94
	v_fma_f32 v80, -0.5, v99, v80
	v_sub_f32_e32 v99, v95, v162
	v_add_f32_e32 v95, v81, v95
	v_fmac_f32_e32 v81, -0.5, v98
	v_sub_f32_e32 v94, v94, v161
	v_add_f32_e32 v98, v76, v78
	v_add_f32_e32 v106, v106, v161
	;; [unrolled: 1-line block ×4, first 2 shown]
	v_fmamk_f32 v162, v94, 0x3f5db3d7, v81
	v_fmac_f32_e32 v81, 0xbf5db3d7, v94
	v_add_f32_e32 v94, v79, v160
	v_fmamk_f32 v161, v99, 0xbf5db3d7, v80
	v_fmac_f32_e32 v76, -0.5, v95
	v_sub_f32_e32 v95, v79, v160
	v_add_f32_e32 v79, v77, v79
	v_fmac_f32_e32 v77, -0.5, v94
	v_sub_f32_e32 v94, v78, v159
	v_fmac_f32_e32 v80, 0x3f5db3d7, v99
	v_add_f32_e32 v159, v98, v159
	v_fmamk_f32 v78, v95, 0xbf5db3d7, v76
	v_fmac_f32_e32 v76, 0x3f5db3d7, v95
	v_add_f32_e32 v160, v79, v160
	v_fmamk_f32 v79, v94, 0x3f5db3d7, v77
	v_fmac_f32_e32 v77, 0xbf5db3d7, v94
	s_barrier
	buffer_gl0_inv
	ds_write2_b64 v169, v[82:83], v[104:105] offset1:1
	ds_write_b64 v169, v[88:89] offset:16
	ds_write2_b64 v170, v[178:179], v[100:101] offset1:1
	ds_write_b64 v170, v[90:91] offset:16
	;; [unrolled: 2-line block ×5, first 2 shown]
	s_and_saveexec_b32 s1, vcc_lo
	s_cbranch_execz .LBB0_21
; %bb.20:
	v_lshlrev_b32_e32 v82, 3, v173
	ds_write2_b64 v82, v[159:160], v[78:79] offset1:1
	ds_write_b64 v82, v[76:77] offset:16
.LBB0_21:
	s_or_b32 exec_lo, exec_lo, s1
	v_add_nc_u32_e32 v86, 0x800, v163
	v_add_nc_u32_e32 v87, 0x1000, v163
	;; [unrolled: 1-line block ×5, first 2 shown]
	s_waitcnt lgkmcnt(0)
	s_barrier
	buffer_gl0_inv
	ds_read2_b64 v[82:85], v163 offset1:108
	ds_read2_b64 v[102:105], v86 offset0:32 offset1:140
	ds_read2_b64 v[98:101], v87 offset0:64 offset1:172
	;; [unrolled: 1-line block ×5, first 2 shown]
	s_and_saveexec_b32 s1, s0
	s_cbranch_execz .LBB0_23
; %bb.22:
	ds_read_b64 v[106:107], v163 offset:1728
	ds_read_b64 v[161:162], v163 offset:4032
	;; [unrolled: 1-line block ×6, first 2 shown]
.LBB0_23:
	s_or_b32 exec_lo, exec_lo, s1
	s_waitcnt lgkmcnt(3)
	v_mul_f32_e32 v170, v31, v99
	v_mul_f32_e32 v31, v31, v98
	;; [unrolled: 1-line block ×4, first 2 shown]
	s_waitcnt lgkmcnt(0)
	v_fmac_f32_e32 v170, v30, v98
	v_fma_f32 v30, v30, v99, -v31
	v_mul_f32_e32 v31, v27, v91
	v_mul_f32_e32 v27, v27, v90
	v_fmac_f32_e32 v169, v28, v102
	v_fma_f32 v28, v28, v103, -v29
	v_mul_f32_e32 v29, v25, v95
	v_mul_f32_e32 v25, v25, v94
	;; [unrolled: 4-line block ×5, first 2 shown]
	v_fmac_f32_e32 v25, v151, v86
	v_fma_f32 v86, v151, v87, -v90
	v_mul_f32_e32 v91, v150, v89
	v_fmac_f32_e32 v21, v16, v96
	v_fma_f32 v90, v16, v97, -v17
	v_mul_f32_e32 v16, v150, v88
	v_mul_f32_e32 v95, v9, v160
	v_fmac_f32_e32 v91, v149, v88
	v_mul_f32_e32 v9, v9, v159
	v_mul_f32_e32 v87, v23, v101
	v_fma_f32 v88, v149, v89, -v16
	v_mul_f32_e32 v89, v15, v81
	v_mul_f32_e32 v15, v15, v80
	v_fma_f32 v96, v8, v160, -v9
	v_add_f32_e32 v9, v170, v31
	v_mul_f32_e32 v23, v23, v100
	v_fmac_f32_e32 v89, v14, v80
	v_fma_f32 v80, v14, v81, -v15
	v_mul_f32_e32 v81, v11, v79
	v_mul_f32_e32 v11, v11, v78
	v_fmac_f32_e32 v95, v8, v159
	v_mul_f32_e32 v97, v148, v77
	v_mul_f32_e32 v8, v148, v76
	v_fmac_f32_e32 v81, v10, v78
	v_fma_f32 v78, v10, v79, -v11
	v_add_f32_e32 v10, v82, v170
	v_fma_f32 v15, -0.5, v9, v82
	v_sub_f32_e32 v9, v30, v26
	v_fmac_f32_e32 v87, v22, v100
	v_fma_f32 v22, v22, v101, -v23
	v_mul_f32_e32 v23, v19, v93
	v_mul_f32_e32 v19, v19, v92
	v_fmac_f32_e32 v97, v147, v76
	v_fma_f32 v76, v147, v77, -v8
	v_add_f32_e32 v8, v30, v26
	v_add_f32_e32 v14, v10, v31
	;; [unrolled: 1-line block ×3, first 2 shown]
	v_fmamk_f32 v16, v9, 0xbf5db3d7, v15
	v_fmac_f32_e32 v15, 0x3f5db3d7, v9
	v_add_f32_e32 v9, v24, v86
	v_fmac_f32_e32 v23, v18, v92
	v_fma_f32 v92, v18, v93, -v19
	v_mul_f32_e32 v93, v13, v162
	v_mul_f32_e32 v13, v13, v161
	v_fma_f32 v19, -0.5, v8, v83
	v_sub_f32_e32 v8, v170, v31
	v_add_f32_e32 v17, v10, v26
	v_add_f32_e32 v10, v29, v25
	;; [unrolled: 1-line block ×3, first 2 shown]
	v_fmac_f32_e32 v28, -0.5, v9
	v_sub_f32_e32 v9, v29, v25
	v_fmac_f32_e32 v93, v12, v161
	v_fma_f32 v94, v12, v162, -v13
	v_fmamk_f32 v26, v8, 0x3f5db3d7, v19
	v_add_f32_e32 v12, v169, v29
	v_fmac_f32_e32 v169, -0.5, v10
	v_sub_f32_e32 v10, v24, v86
	v_fmac_f32_e32 v19, 0xbf5db3d7, v8
	v_fmamk_f32 v8, v9, 0x3f5db3d7, v28
	v_fmac_f32_e32 v28, 0xbf5db3d7, v9
	v_add_f32_e32 v18, v12, v25
	v_fmamk_f32 v9, v10, 0xbf5db3d7, v169
	v_fmac_f32_e32 v169, 0x3f5db3d7, v10
	v_mul_f32_e32 v24, 0xbf5db3d7, v8
	v_mul_f32_e32 v25, 0xbf5db3d7, v28
	v_add_f32_e32 v29, v11, v86
	v_mul_f32_e32 v30, 0.5, v8
	v_mul_f32_e32 v28, -0.5, v28
	v_fmac_f32_e32 v24, 0.5, v9
	v_fmac_f32_e32 v25, -0.5, v169
	v_add_f32_e32 v8, v14, v18
	v_fmac_f32_e32 v30, 0x3f5db3d7, v9
	v_add_f32_e32 v9, v17, v29
	v_add_f32_e32 v10, v16, v24
	v_sub_f32_e32 v16, v16, v24
	v_add_f32_e32 v24, v87, v23
	v_add_f32_e32 v12, v15, v25
	v_sub_f32_e32 v14, v14, v18
	v_sub_f32_e32 v18, v15, v25
	;; [unrolled: 1-line block ×3, first 2 shown]
	v_fma_f32 v29, -0.5, v24, v84
	v_sub_f32_e32 v24, v22, v92
	v_fmac_f32_e32 v28, 0x3f5db3d7, v169
	v_add_f32_e32 v11, v26, v30
	v_sub_f32_e32 v17, v26, v30
	v_add_f32_e32 v25, v84, v87
	v_add_f32_e32 v26, v22, v92
	;; [unrolled: 1-line block ×3, first 2 shown]
	v_fmamk_f32 v30, v24, 0xbf5db3d7, v29
	v_fmac_f32_e32 v29, 0x3f5db3d7, v24
	v_add_f32_e32 v24, v90, v88
	v_add_f32_e32 v13, v19, v28
	v_sub_f32_e32 v19, v19, v28
	v_add_f32_e32 v28, v25, v23
	v_fmac_f32_e32 v85, -0.5, v26
	v_sub_f32_e32 v23, v87, v23
	v_add_f32_e32 v31, v22, v92
	v_add_f32_e32 v22, v21, v91
	;; [unrolled: 1-line block ×3, first 2 shown]
	v_fmac_f32_e32 v20, -0.5, v24
	v_sub_f32_e32 v24, v21, v91
	v_fmamk_f32 v77, v23, 0x3f5db3d7, v85
	v_add_f32_e32 v21, v27, v21
	v_fmac_f32_e32 v27, -0.5, v22
	v_sub_f32_e32 v22, v90, v88
	v_fmac_f32_e32 v85, 0xbf5db3d7, v23
	v_fmamk_f32 v23, v24, 0x3f5db3d7, v20
	v_fmac_f32_e32 v20, 0xbf5db3d7, v24
	v_add_f32_e32 v26, v21, v91
	v_fmamk_f32 v21, v22, 0xbf5db3d7, v27
	v_fmac_f32_e32 v27, 0x3f5db3d7, v22
	v_mul_f32_e32 v79, 0xbf5db3d7, v23
	v_mul_f32_e32 v82, 0xbf5db3d7, v20
	v_mul_f32_e32 v84, 0.5, v23
	v_mul_f32_e32 v86, -0.5, v20
	v_add_f32_e32 v20, v28, v26
	v_fmac_f32_e32 v79, 0.5, v21
	v_fmac_f32_e32 v82, -0.5, v27
	v_fmac_f32_e32 v84, 0x3f5db3d7, v21
	v_sub_f32_e32 v26, v28, v26
	v_add_f32_e32 v83, v25, v88
	v_add_f32_e32 v22, v30, v79
	v_sub_f32_e32 v28, v30, v79
	v_add_f32_e32 v79, v81, v89
	v_add_f32_e32 v24, v29, v82
	;; [unrolled: 1-line block ×3, first 2 shown]
	v_sub_f32_e32 v30, v29, v82
	v_sub_f32_e32 v29, v77, v84
	v_add_f32_e32 v77, v89, v106
	v_add_f32_e32 v82, v78, v80
	v_fmac_f32_e32 v106, -0.5, v79
	v_sub_f32_e32 v79, v80, v78
	v_fmac_f32_e32 v86, 0x3f5db3d7, v27
	v_add_f32_e32 v21, v31, v83
	v_sub_f32_e32 v27, v31, v83
	v_add_f32_e32 v83, v81, v77
	v_add_f32_e32 v77, v80, v107
	v_fmac_f32_e32 v107, -0.5, v82
	v_fmamk_f32 v82, v79, 0xbf5db3d7, v106
	v_fmac_f32_e32 v106, 0x3f5db3d7, v79
	v_add_f32_e32 v79, v96, v76
	v_add_f32_e32 v25, v85, v86
	v_sub_f32_e32 v31, v85, v86
	v_sub_f32_e32 v80, v89, v81
	v_add_f32_e32 v85, v78, v77
	v_add_f32_e32 v77, v95, v97
	;; [unrolled: 1-line block ×3, first 2 shown]
	v_fmac_f32_e32 v94, -0.5, v79
	v_sub_f32_e32 v79, v95, v97
	v_fmamk_f32 v87, v80, 0x3f5db3d7, v107
	v_add_f32_e32 v81, v95, v93
	v_fmac_f32_e32 v93, -0.5, v77
	v_sub_f32_e32 v77, v96, v76
	v_fmac_f32_e32 v107, 0xbf5db3d7, v80
	v_fmamk_f32 v80, v79, 0x3f5db3d7, v94
	v_fmac_f32_e32 v94, 0xbf5db3d7, v79
	v_add_f32_e32 v84, v97, v81
	v_fmamk_f32 v79, v77, 0xbf5db3d7, v93
	v_fmac_f32_e32 v93, 0x3f5db3d7, v77
	v_mul_f32_e32 v86, 0xbf5db3d7, v80
	v_mul_f32_e32 v88, 0xbf5db3d7, v94
	v_mul_f32_e32 v90, 0.5, v80
	v_mul_f32_e32 v91, -0.5, v94
	v_add_f32_e32 v89, v76, v78
	v_fmac_f32_e32 v86, 0.5, v79
	v_fmac_f32_e32 v88, -0.5, v93
	v_fmac_f32_e32 v90, 0x3f5db3d7, v79
	v_fmac_f32_e32 v91, 0x3f5db3d7, v93
	v_add_f32_e32 v76, v83, v84
	v_add_f32_e32 v80, v82, v86
	;; [unrolled: 1-line block ×6, first 2 shown]
	v_sub_f32_e32 v84, v83, v84
	v_sub_f32_e32 v82, v82, v86
	;; [unrolled: 1-line block ×6, first 2 shown]
	s_barrier
	buffer_gl0_inv
	ds_write2_b64 v168, v[8:9], v[10:11] offset1:3
	ds_write2_b64 v168, v[12:13], v[14:15] offset0:6 offset1:9
	ds_write2_b64 v168, v[16:17], v[18:19] offset0:12 offset1:15
	ds_write2_b64 v167, v[20:21], v[22:23] offset1:3
	ds_write2_b64 v167, v[24:25], v[26:27] offset0:6 offset1:9
	ds_write2_b64 v167, v[28:29], v[30:31] offset0:12 offset1:15
	s_and_saveexec_b32 s1, s0
	s_cbranch_execz .LBB0_25
; %bb.24:
	v_mov_b32_e32 v8, 3
	v_lshlrev_b32_sdwa v8, v8, v166 dst_sel:DWORD dst_unused:UNUSED_PAD src0_sel:DWORD src1_sel:WORD_0
	ds_write2_b64 v8, v[76:77], v[80:81] offset1:3
	ds_write2_b64 v8, v[78:79], v[84:85] offset0:6 offset1:9
	ds_write2_b64 v8, v[82:83], v[86:87] offset0:12 offset1:15
.LBB0_25:
	s_or_b32 exec_lo, exec_lo, s1
	v_add_nc_u32_e32 v12, 0x800, v163
	v_add_nc_u32_e32 v13, 0x1000, v163
	;; [unrolled: 1-line block ×5, first 2 shown]
	s_waitcnt lgkmcnt(0)
	s_barrier
	buffer_gl0_inv
	ds_read2_b64 v[8:11], v163 offset1:108
	ds_read2_b64 v[28:31], v12 offset0:32 offset1:140
	ds_read2_b64 v[24:27], v13 offset0:64 offset1:172
	;; [unrolled: 1-line block ×5, first 2 shown]
	s_and_saveexec_b32 s1, s0
	s_cbranch_execz .LBB0_27
; %bb.26:
	ds_read_b64 v[76:77], v163 offset:1728
	ds_read_b64 v[80:81], v163 offset:4032
	;; [unrolled: 1-line block ×6, first 2 shown]
.LBB0_27:
	s_or_b32 exec_lo, exec_lo, s1
	s_waitcnt lgkmcnt(4)
	v_mul_f32_e32 v88, v45, v29
	v_mul_f32_e32 v45, v45, v28
	s_waitcnt lgkmcnt(3)
	v_mul_f32_e32 v89, v47, v25
	v_mul_f32_e32 v47, v47, v24
	s_waitcnt lgkmcnt(0)
	v_fmac_f32_e32 v88, v44, v28
	v_fma_f32 v28, v44, v29, -v45
	v_mul_f32_e32 v29, v41, v21
	v_fmac_f32_e32 v89, v46, v24
	v_mul_f32_e32 v24, v41, v20
	v_mul_f32_e32 v41, v43, v17
	v_fma_f32 v25, v46, v25, -v47
	v_fmac_f32_e32 v29, v40, v20
	v_mul_f32_e32 v20, v43, v16
	v_fma_f32 v21, v40, v21, -v24
	v_mul_f32_e32 v24, v156, v13
	v_fmac_f32_e32 v41, v42, v16
	v_mul_f32_e32 v16, v156, v12
	v_mul_f32_e32 v40, v37, v31
	v_fma_f32 v17, v42, v17, -v20
	v_fmac_f32_e32 v24, v155, v12
	v_mul_f32_e32 v12, v37, v30
	v_fma_f32 v13, v155, v13, -v16
	v_mul_f32_e32 v37, v39, v27
	v_mul_f32_e32 v16, v39, v26
	v_fmac_f32_e32 v40, v36, v30
	v_fma_f32 v30, v36, v31, -v12
	v_mul_f32_e32 v31, v33, v23
	v_fmac_f32_e32 v37, v38, v26
	v_mul_f32_e32 v12, v33, v22
	v_fma_f32 v26, v38, v27, -v16
	v_mul_f32_e32 v16, v35, v18
	v_fmac_f32_e32 v31, v32, v22
	v_mul_f32_e32 v27, v35, v19
	v_fma_f32 v22, v32, v23, -v12
	v_mul_f32_e32 v23, v154, v15
	v_fma_f32 v32, v34, v19, -v16
	v_add_f32_e32 v16, v89, v41
	v_mul_f32_e32 v12, v154, v14
	v_fmac_f32_e32 v27, v34, v18
	v_fmac_f32_e32 v23, v153, v14
	v_add_f32_e32 v14, v8, v89
	v_fma_f32 v19, -0.5, v16, v8
	v_sub_f32_e32 v8, v25, v17
	v_fma_f32 v33, v153, v15, -v12
	v_add_f32_e32 v12, v25, v17
	v_add_f32_e32 v16, v14, v41
	;; [unrolled: 1-line block ×3, first 2 shown]
	v_fmamk_f32 v18, v8, 0xbf5db3d7, v19
	v_fmac_f32_e32 v19, 0x3f5db3d7, v8
	v_add_f32_e32 v8, v21, v13
	v_fma_f32 v25, -0.5, v12, v9
	v_sub_f32_e32 v9, v89, v41
	v_add_f32_e32 v17, v14, v17
	v_add_f32_e32 v12, v29, v24
	;; [unrolled: 1-line block ×3, first 2 shown]
	v_fmac_f32_e32 v28, -0.5, v8
	v_sub_f32_e32 v8, v29, v24
	v_fmamk_f32 v34, v9, 0x3f5db3d7, v25
	v_add_f32_e32 v15, v88, v29
	v_fmac_f32_e32 v88, -0.5, v12
	v_sub_f32_e32 v12, v21, v13
	v_fmac_f32_e32 v25, 0xbf5db3d7, v9
	v_fmamk_f32 v9, v8, 0x3f5db3d7, v28
	v_fmac_f32_e32 v28, 0xbf5db3d7, v8
	v_add_f32_e32 v20, v15, v24
	v_fmamk_f32 v15, v12, 0xbf5db3d7, v88
	v_fmac_f32_e32 v88, 0x3f5db3d7, v12
	v_mul_f32_e32 v21, 0xbf5db3d7, v9
	v_mul_f32_e32 v24, 0xbf5db3d7, v28
	v_add_f32_e32 v29, v14, v13
	v_mul_f32_e32 v28, -0.5, v28
	v_add_f32_e32 v8, v16, v20
	v_sub_f32_e32 v16, v16, v20
	v_fmac_f32_e32 v24, -0.5, v88
	v_mul_f32_e32 v35, 0.5, v9
	v_fmac_f32_e32 v21, 0.5, v15
	v_fmac_f32_e32 v28, 0x3f5db3d7, v88
	v_add_f32_e32 v9, v17, v29
	v_add_f32_e32 v14, v19, v24
	v_sub_f32_e32 v20, v19, v24
	v_add_f32_e32 v24, v37, v27
	v_sub_f32_e32 v17, v17, v29
	v_add_f32_e32 v29, v10, v37
	v_fmac_f32_e32 v35, 0x3f5db3d7, v15
	v_add_f32_e32 v12, v18, v21
	v_fma_f32 v10, -0.5, v24, v10
	v_sub_f32_e32 v24, v26, v32
	v_add_f32_e32 v15, v25, v28
	v_sub_f32_e32 v18, v18, v21
	v_sub_f32_e32 v21, v25, v28
	v_add_f32_e32 v25, v26, v32
	v_add_f32_e32 v28, v29, v27
	;; [unrolled: 1-line block ×3, first 2 shown]
	v_fmamk_f32 v29, v24, 0xbf5db3d7, v10
	v_fmac_f32_e32 v10, 0x3f5db3d7, v24
	v_add_f32_e32 v24, v22, v33
	v_fmac_f32_e32 v11, -0.5, v25
	v_sub_f32_e32 v25, v37, v27
	v_add_f32_e32 v32, v26, v32
	v_add_f32_e32 v26, v31, v23
	;; [unrolled: 1-line block ×3, first 2 shown]
	v_fmac_f32_e32 v30, -0.5, v24
	v_sub_f32_e32 v24, v31, v23
	v_add_f32_e32 v13, v34, v35
	v_sub_f32_e32 v19, v34, v35
	v_fmamk_f32 v34, v25, 0x3f5db3d7, v11
	v_add_f32_e32 v31, v40, v31
	v_fmac_f32_e32 v40, -0.5, v26
	v_sub_f32_e32 v22, v22, v33
	v_fmac_f32_e32 v11, 0xbf5db3d7, v25
	v_fmamk_f32 v25, v24, 0x3f5db3d7, v30
	v_fmac_f32_e32 v30, 0xbf5db3d7, v24
	v_add_f32_e32 v31, v31, v23
	v_fmamk_f32 v23, v22, 0xbf5db3d7, v40
	v_fmac_f32_e32 v40, 0x3f5db3d7, v22
	v_mul_f32_e32 v35, 0xbf5db3d7, v25
	v_mul_f32_e32 v37, 0.5, v25
	v_mul_f32_e32 v36, 0xbf5db3d7, v30
	v_mul_f32_e32 v38, -0.5, v30
	v_add_f32_e32 v33, v27, v33
	v_fmac_f32_e32 v35, 0.5, v23
	v_fmac_f32_e32 v37, 0x3f5db3d7, v23
	v_fmac_f32_e32 v36, -0.5, v40
	v_fmac_f32_e32 v38, 0x3f5db3d7, v40
	v_add_f32_e32 v22, v28, v31
	v_add_f32_e32 v24, v29, v35
	;; [unrolled: 1-line block ×6, first 2 shown]
	v_sub_f32_e32 v28, v28, v31
	v_sub_f32_e32 v30, v29, v35
	;; [unrolled: 1-line block ×6, first 2 shown]
	s_barrier
	buffer_gl0_inv
	ds_write2_b64 v176, v[8:9], v[12:13] offset1:18
	ds_write2_b64 v176, v[14:15], v[16:17] offset0:36 offset1:54
	ds_write2_b64 v176, v[18:19], v[20:21] offset0:72 offset1:90
	ds_write2_b64 v175, v[22:23], v[24:25] offset1:18
	ds_write2_b64 v175, v[26:27], v[28:29] offset0:36 offset1:54
	ds_write2_b64 v175, v[30:31], v[10:11] offset0:72 offset1:90
	s_and_saveexec_b32 s1, s0
	s_cbranch_execz .LBB0_29
; %bb.28:
	v_mul_f32_e32 v10, v1, v85
	v_mul_f32_e32 v1, v1, v84
	;; [unrolled: 1-line block ×6, first 2 shown]
	v_fma_f32 v14, v0, v85, -v1
	v_fma_f32 v11, v145, v87, -v11
	v_fmac_f32_e32 v10, v0, v84
	v_fmac_f32_e32 v12, v145, v86
	v_fma_f32 v0, v4, v81, -v13
	v_mul_f32_e32 v8, v7, v78
	v_add_f32_e32 v13, v14, v11
	v_mul_f32_e32 v9, v3, v82
	v_mul_f32_e32 v7, v7, v79
	;; [unrolled: 1-line block ×3, first 2 shown]
	v_fmac_f32_e32 v5, v4, v80
	v_add_f32_e32 v3, v10, v12
	v_fma_f32 v4, -0.5, v13, v0
	v_sub_f32_e32 v13, v10, v12
	v_fma_f32 v8, v6, v79, -v8
	v_fma_f32 v9, v2, v83, -v9
	v_fmac_f32_e32 v7, v6, v78
	v_fmac_f32_e32 v15, v2, v82
	v_fma_f32 v2, -0.5, v3, v5
	v_sub_f32_e32 v3, v14, v11
	v_fmamk_f32 v6, v13, 0xbf5db3d7, v4
	v_add_f32_e32 v1, v9, v8
	v_fmac_f32_e32 v4, 0x3f5db3d7, v13
	v_add_f32_e32 v20, v8, v77
	v_fmamk_f32 v13, v3, 0x3f5db3d7, v2
	v_mul_f32_e32 v17, -0.5, v6
	v_add_f32_e32 v21, v15, v7
	v_add_f32_e32 v0, v14, v0
	v_mul_f32_e32 v6, 0xbf5db3d7, v6
	v_fma_f32 v16, -0.5, v1, v77
	v_sub_f32_e32 v1, v7, v15
	v_fmac_f32_e32 v2, 0xbf5db3d7, v3
	v_mul_f32_e32 v18, 0.5, v4
	v_fmac_f32_e32 v17, 0x3f5db3d7, v13
	v_add_f32_e32 v14, v9, v20
	v_fma_f32 v20, -0.5, v21, v76
	v_sub_f32_e32 v8, v8, v9
	v_add_f32_e32 v11, v11, v0
	v_add_f32_e32 v0, v7, v76
	;; [unrolled: 1-line block ×3, first 2 shown]
	v_fmac_f32_e32 v6, -0.5, v13
	v_mul_f32_e32 v13, 0xbf5db3d7, v4
	v_fmamk_f32 v19, v1, 0xbf5db3d7, v16
	v_fmac_f32_e32 v16, 0x3f5db3d7, v1
	v_fmac_f32_e32 v18, 0x3f5db3d7, v2
	v_fmamk_f32 v21, v8, 0x3f5db3d7, v20
	v_add_f32_e32 v10, v15, v0
	v_add_f32_e32 v12, v12, v5
	v_fmac_f32_e32 v20, 0xbf5db3d7, v8
	v_fmac_f32_e32 v13, 0.5, v2
	v_mov_b32_e32 v2, 3
	v_sub_f32_e32 v5, v14, v11
	v_sub_f32_e32 v4, v10, v12
	v_add_f32_e32 v9, v16, v18
	v_add_f32_e32 v11, v14, v11
	;; [unrolled: 1-line block ×4, first 2 shown]
	v_lshlrev_b32_sdwa v12, v2, v177 dst_sel:DWORD dst_unused:UNUSED_PAD src0_sel:DWORD src1_sel:WORD_0
	v_sub_f32_e32 v0, v21, v6
	v_add_f32_e32 v7, v19, v17
	v_add_f32_e32 v6, v21, v6
	v_sub_f32_e32 v1, v19, v17
	v_sub_f32_e32 v3, v16, v18
	v_sub_f32_e32 v2, v20, v13
	ds_write2_b64 v12, v[10:11], v[8:9] offset1:18
	ds_write2_b64 v12, v[6:7], v[4:5] offset0:36 offset1:54
	ds_write2_b64 v12, v[2:3], v[0:1] offset0:72 offset1:90
.LBB0_29:
	s_or_b32 exec_lo, exec_lo, s1
	v_add_nc_u32_e32 v2, 0x400, v163
	v_add_nc_u32_e32 v35, 0xc00, v163
	s_waitcnt lgkmcnt(0)
	s_barrier
	buffer_gl0_inv
	ds_read2_b64 v[3:6], v163 offset1:108
	ds_read2_b64 v[7:10], v2 offset0:88 offset1:196
	ds_read2_b64 v[11:14], v35 offset0:48 offset1:156
	v_add_nc_u32_e32 v36, 0x1000, v163
	v_add_nc_u32_e32 v0, 0x1800, v163
	ds_read2_b64 v[15:18], v36 offset0:136 offset1:244
	ds_read2_b64 v[19:22], v0 offset0:96 offset1:204
	v_add_nc_u32_e32 v37, 0x2000, v163
	v_add_nc_u32_e32 v1, 0x2800, v163
	;; [unrolled: 1-line block ×3, first 2 shown]
	ds_read2_b64 v[23:26], v37 offset0:56 offset1:164
	ds_read2_b64 v[27:30], v1 offset0:16 offset1:124
	;; [unrolled: 1-line block ×3, first 2 shown]
	s_mov_b32 s2, 0xbda12f68
	s_mov_b32 s3, 0x3f42f684
	s_mul_hi_u32 s1, s8, 0x240
	s_waitcnt lgkmcnt(7)
	v_mul_f32_e32 v39, v73, v6
	v_mul_f32_e32 v40, v73, v5
	s_waitcnt lgkmcnt(6)
	v_mul_f32_e32 v41, v65, v10
	v_mul_f32_e32 v42, v65, v9
	s_waitcnt lgkmcnt(5)
	v_mul_f32_e32 v43, v67, v12
	v_fmac_f32_e32 v39, v72, v5
	v_fma_f32 v5, v72, v6, -v40
	v_mul_f32_e32 v6, v75, v8
	v_mul_f32_e32 v40, v75, v7
	v_fmac_f32_e32 v41, v64, v9
	v_mul_f32_e32 v9, v57, v14
	v_mul_f32_e32 v44, v67, v11
	v_fmac_f32_e32 v6, v74, v7
	v_fma_f32 v7, v74, v8, -v40
	v_fma_f32 v8, v64, v10, -v42
	v_mul_f32_e32 v10, v57, v13
	v_fmac_f32_e32 v9, v56, v13
	s_waitcnt lgkmcnt(4)
	v_mul_f32_e32 v13, v59, v15
	v_fmac_f32_e32 v43, v66, v11
	v_fma_f32 v11, v66, v12, -v44
	v_mul_f32_e32 v12, v59, v16
	s_waitcnt lgkmcnt(3)
	v_mul_f32_e32 v40, v51, v20
	v_fma_f32 v13, v58, v16, -v13
	v_mul_f32_e32 v16, v51, v19
	v_fma_f32 v10, v56, v14, -v10
	v_mul_f32_e32 v14, v49, v18
	v_fmac_f32_e32 v12, v58, v15
	v_mul_f32_e32 v15, v49, v17
	v_fma_f32 v16, v50, v20, -v16
	s_waitcnt lgkmcnt(2)
	v_mul_f32_e32 v20, v71, v23
	v_fmac_f32_e32 v40, v50, v19
	v_mul_f32_e32 v19, v71, v24
	v_fmac_f32_e32 v14, v48, v17
	v_mul_f32_e32 v17, v69, v22
	v_fma_f32 v20, v70, v24, -v20
	s_waitcnt lgkmcnt(1)
	v_mul_f32_e32 v24, v63, v27
	v_fma_f32 v15, v48, v18, -v15
	v_mul_f32_e32 v18, v69, v21
	v_fmac_f32_e32 v19, v70, v23
	v_mul_f32_e32 v23, v63, v28
	v_fmac_f32_e32 v17, v68, v21
	v_mul_f32_e32 v21, v61, v26
	v_fma_f32 v24, v62, v28, -v24
	s_waitcnt lgkmcnt(0)
	v_mul_f32_e32 v28, v55, v31
	v_fma_f32 v18, v68, v22, -v18
	v_mul_f32_e32 v22, v61, v25
	v_fmac_f32_e32 v23, v62, v27
	v_mul_f32_e32 v27, v55, v32
	v_fmac_f32_e32 v21, v60, v25
	v_mul_f32_e32 v25, v53, v30
	v_fma_f32 v28, v54, v32, -v28
	v_fma_f32 v22, v60, v26, -v22
	v_mul_f32_e32 v26, v53, v29
	v_fmac_f32_e32 v27, v54, v31
	v_fmac_f32_e32 v25, v52, v29
	v_mul_f32_e32 v29, v158, v34
	v_sub_f32_e32 v31, v3, v40
	v_sub_f32_e32 v24, v11, v24
	;; [unrolled: 1-line block ×4, first 2 shown]
	v_fma_f32 v26, v52, v30, -v26
	v_mul_f32_e32 v30, v158, v33
	v_sub_f32_e32 v23, v43, v23
	v_sub_f32_e32 v27, v12, v27
	v_fmac_f32_e32 v29, v157, v33
	v_sub_f32_e32 v16, v4, v16
	v_sub_f32_e32 v20, v7, v20
	v_fma_f32 v11, v11, 2.0, -v24
	v_fma_f32 v13, v13, 2.0, -v28
	v_add_f32_e32 v24, v31, v24
	v_add_f32_e32 v28, v19, v28
	v_fma_f32 v30, v157, v34, -v30
	v_fma_f32 v3, v3, 2.0, -v31
	v_fma_f32 v32, v43, 2.0, -v23
	;; [unrolled: 1-line block ×4, first 2 shown]
	v_sub_f32_e32 v17, v39, v17
	v_sub_f32_e32 v25, v9, v25
	;; [unrolled: 1-line block ×5, first 2 shown]
	v_fma_f32 v31, v31, 2.0, -v24
	v_sub_f32_e32 v27, v20, v27
	v_fma_f32 v19, v19, 2.0, -v28
	v_sub_f32_e32 v18, v5, v18
	v_sub_f32_e32 v22, v8, v22
	;; [unrolled: 1-line block ×5, first 2 shown]
	v_fma_f32 v4, v4, 2.0, -v16
	v_fma_f32 v7, v7, 2.0, -v20
	;; [unrolled: 1-line block ×3, first 2 shown]
	v_sub_f32_e32 v26, v10, v26
	v_fma_f32 v9, v9, 2.0, -v25
	v_fma_f32 v34, v41, 2.0, -v21
	;; [unrolled: 1-line block ×5, first 2 shown]
	v_fmamk_f32 v39, v19, 0xbf3504f3, v31
	v_fma_f32 v8, v8, 2.0, -v22
	v_fma_f32 v15, v15, 2.0, -v30
	;; [unrolled: 1-line block ×4, first 2 shown]
	v_sub_f32_e32 v25, v18, v25
	v_sub_f32_e32 v29, v22, v29
	v_fma_f32 v10, v10, 2.0, -v26
	v_sub_f32_e32 v13, v7, v13
	v_sub_f32_e32 v9, v33, v9
	v_add_f32_e32 v26, v17, v26
	v_sub_f32_e32 v14, v34, v14
	v_add_f32_e32 v30, v21, v30
	v_fmamk_f32 v42, v20, 0xbf3504f3, v16
	v_fmac_f32_e32 v39, 0x3f3504f3, v20
	v_fma_f32 v5, v5, 2.0, -v18
	v_sub_f32_e32 v15, v8, v15
	v_fma_f32 v18, v18, 2.0, -v25
	v_sub_f32_e32 v40, v3, v6
	;; [unrolled: 2-line block ×3, first 2 shown]
	v_fma_f32 v33, v33, 2.0, -v9
	v_fma_f32 v17, v17, 2.0, -v26
	;; [unrolled: 1-line block ×4, first 2 shown]
	v_fmac_f32_e32 v42, 0xbf3504f3, v19
	v_fma_f32 v19, v31, 2.0, -v39
	v_add_f32_e32 v31, v32, v13
	v_fmamk_f32 v45, v27, 0x3f3504f3, v23
	v_sub_f32_e32 v10, v5, v10
	v_fmamk_f32 v46, v6, 0xbf3504f3, v18
	v_add_f32_e32 v47, v9, v15
	v_fma_f32 v4, v4, 2.0, -v11
	v_fma_f32 v7, v7, 2.0, -v13
	v_fmamk_f32 v43, v28, 0x3f3504f3, v24
	v_fma_f32 v22, v32, 2.0, -v31
	v_fmac_f32_e32 v45, 0xbf3504f3, v28
	v_fmamk_f32 v28, v21, 0xbf3504f3, v17
	v_sub_f32_e32 v32, v33, v34
	v_sub_f32_e32 v44, v11, v12
	v_fmac_f32_e32 v46, 0xbf3504f3, v21
	v_sub_f32_e32 v48, v10, v14
	v_fma_f32 v14, v9, 2.0, -v47
	v_fma_f32 v5, v5, 2.0, -v10
	v_fma_f32 v8, v8, 2.0, -v15
	v_sub_f32_e32 v41, v4, v7
	v_fma_f32 v7, v3, 2.0, -v40
	v_fmac_f32_e32 v28, 0x3f3504f3, v6
	v_fma_f32 v3, v33, 2.0, -v32
	v_fmamk_f32 v33, v30, 0x3f3504f3, v26
	v_fmamk_f32 v49, v29, 0x3f3504f3, v25
	v_fma_f32 v16, v16, 2.0, -v42
	v_fmac_f32_e32 v43, 0x3f3504f3, v27
	v_fma_f32 v27, v11, 2.0, -v44
	v_fma_f32 v12, v18, 2.0, -v46
	;; [unrolled: 1-line block ×3, first 2 shown]
	v_fmamk_f32 v9, v14, 0xbf3504f3, v22
	v_sub_f32_e32 v34, v5, v8
	v_fma_f32 v11, v17, 2.0, -v28
	v_fmac_f32_e32 v33, 0x3f3504f3, v29
	v_fmac_f32_e32 v49, 0xbf3504f3, v30
	v_fmamk_f32 v6, v12, 0xbf6c835e, v16
	v_fmamk_f32 v10, v15, 0xbf3504f3, v27
	v_fmac_f32_e32 v9, 0x3f3504f3, v15
	v_fma_f32 v20, v4, 2.0, -v41
	v_fma_f32 v24, v24, 2.0, -v43
	;; [unrolled: 1-line block ×5, first 2 shown]
	v_fmamk_f32 v5, v11, 0xbf6c835e, v19
	v_fma_f32 v18, v25, 2.0, -v49
	v_fmac_f32_e32 v6, 0xbec3ef15, v11
	v_fmac_f32_e32 v10, 0xbf3504f3, v14
	v_fma_f32 v15, v22, 2.0, -v9
	v_fmamk_f32 v22, v46, 0x3ec3ef15, v42
	v_fmac_f32_e32 v5, 0x3ec3ef15, v12
	v_fmamk_f32 v11, v17, 0xbec3ef15, v24
	v_fmamk_f32 v12, v18, 0xbec3ef15, v23
	v_sub_f32_e32 v4, v20, v4
	v_fmamk_f32 v21, v28, 0x3ec3ef15, v39
	v_fma_f32 v14, v16, 2.0, -v6
	v_fma_f32 v16, v27, 2.0, -v10
	v_fmac_f32_e32 v22, 0xbf6c835e, v28
	v_fmamk_f32 v25, v47, 0x3f3504f3, v31
	v_fmamk_f32 v26, v48, 0x3f3504f3, v44
	;; [unrolled: 1-line block ×4, first 2 shown]
	v_sub_f32_e32 v3, v7, v3
	v_fmac_f32_e32 v11, 0x3f6c835e, v18
	v_fmac_f32_e32 v12, 0xbf6c835e, v17
	v_fma_f32 v8, v20, 2.0, -v4
	v_fma_f32 v13, v19, 2.0, -v5
	v_add_f32_e32 v19, v40, v34
	v_sub_f32_e32 v20, v41, v32
	v_fmac_f32_e32 v21, 0x3f6c835e, v46
	v_fmac_f32_e32 v25, 0x3f3504f3, v48
	;; [unrolled: 1-line block ×5, first 2 shown]
	v_fma_f32 v7, v7, 2.0, -v3
	v_fma_f32 v17, v24, 2.0, -v11
	;; [unrolled: 1-line block ×11, first 2 shown]
	ds_write2_b64 v163, v[7:8], v[13:14] offset1:108
	ds_write2_b64 v2, v[15:16], v[17:18] offset0:88 offset1:196
	ds_write2_b64 v35, v[23:24], v[29:30] offset0:48 offset1:156
	;; [unrolled: 1-line block ×7, first 2 shown]
	s_waitcnt lgkmcnt(0)
	s_barrier
	buffer_gl0_inv
	ds_read2_b64 v[3:6], v163 offset1:108
	v_mad_u64_u32 v[15:16], null, s10, v132, 0
	v_mad_u64_u32 v[21:22], null, s8, v165, 0
	v_mov_b32_e32 v13, v16
	v_mad_u64_u32 v[16:17], null, s11, v132, v[13:14]
	s_waitcnt lgkmcnt(0)
	v_mul_f32_e32 v7, v142, v4
	v_mul_f32_e32 v8, v142, v3
	v_fmac_f32_e32 v7, v141, v3
	v_fma_f32 v8, v141, v4, -v8
	v_cvt_f64_f32_e32 v[3:4], v7
	v_cvt_f64_f32_e32 v[11:12], v8
	ds_read2_b64 v[7:10], v35 offset0:48 offset1:192
	s_waitcnt lgkmcnt(0)
	v_mul_f32_e32 v17, v144, v10
	v_mul_f32_e32 v18, v144, v9
	v_mul_f64 v[19:20], v[11:12], s[2:3]
	ds_read2_b64 v[11:14], v37 offset0:128 offset1:236
	v_mul_f64 v[3:4], v[3:4], s[2:3]
	v_fmac_f32_e32 v17, v143, v9
	v_fma_f32 v18, v143, v10, -v18
	v_cvt_f64_f32_e32 v[9:10], v17
	v_mov_b32_e32 v17, v22
	v_cvt_f64_f32_e32 v[23:24], v18
	v_mad_u64_u32 v[25:26], null, s9, v165, v[17:18]
	v_add_nc_u32_e32 v17, 0x1400, v163
	v_lshlrev_b64 v[26:27], 3, v[15:16]
	ds_read2_b64 v[15:18], v17 offset0:44 offset1:152
	v_mov_b32_e32 v22, v25
	s_waitcnt lgkmcnt(1)
	v_mul_f32_e32 v25, v138, v12
	v_add_co_u32 v36, s0, s6, v26
	v_add_co_ci_u32_e64 v37, s0, s7, v27, s0
	v_fmac_f32_e32 v25, v137, v11
	v_mul_f32_e32 v11, v138, v11
	v_mul_f32_e32 v27, v134, v5
	;; [unrolled: 1-line block ×3, first 2 shown]
	v_cvt_f32_f64_e32 v3, v[3:4]
	v_cvt_f32_f64_e32 v4, v[19:20]
	v_fma_f32 v11, v137, v12, -v11
	v_lshlrev_b64 v[19:20], 3, v[21:22]
	v_mul_f64 v[21:22], v[23:24], s[2:3]
	v_cvt_f64_f32_e32 v[23:24], v25
	v_fma_f32 v25, v133, v6, -v27
	v_mul_f64 v[9:10], v[9:10], s[2:3]
	v_fmac_f32_e32 v26, v133, v5
	s_waitcnt lgkmcnt(0)
	v_mul_f32_e32 v27, v140, v16
	v_mul_f32_e32 v28, v140, v15
	v_cvt_f64_f32_e32 v[5:6], v11
	v_mul_f32_e32 v33, v136, v14
	v_cvt_f64_f32_e32 v[11:12], v26
	v_fmac_f32_e32 v27, v139, v15
	v_fma_f32 v28, v139, v16, -v28
	v_add_co_u32 v15, s0, v36, v19
	v_cvt_f64_f32_e32 v[25:26], v25
	v_add_co_ci_u32_e64 v16, s0, v37, v20, s0
	v_cvt_f64_f32_e32 v[19:20], v27
	v_cvt_f64_f32_e32 v[27:28], v28
	v_fmac_f32_e32 v33, v135, v13
	global_store_dwordx2 v[15:16], v[3:4], off
	v_mul_f32_e32 v13, v136, v13
	v_cvt_f32_f64_e32 v30, v[21:22]
	v_mad_u64_u32 v[21:22], null, s8, v164, 0
	v_cvt_f32_f64_e32 v29, v[9:10]
	v_mul_f64 v[9:10], v[23:24], s[2:3]
	s_mul_i32 s0, s9, 0x240
	v_mul_f64 v[23:24], v[5:6], s[2:3]
	ds_read2_b64 v[2:5], v2 offset0:88 offset1:196
	v_mul_f64 v[11:12], v[11:12], s[2:3]
	v_mov_b32_e32 v6, v22
	s_add_i32 s1, s1, s0
	s_mul_i32 s0, s8, 0x240
	v_mul_f64 v[25:26], v[25:26], s[2:3]
	v_mad_u64_u32 v[31:32], null, s9, v164, v[6:7]
	v_mul_f64 v[19:20], v[19:20], s[2:3]
	v_mul_f64 v[27:28], v[27:28], s[2:3]
	v_fma_f32 v6, v135, v14, -v13
	s_lshl_b64 s[4:5], s[0:1], 3
	v_cvt_f64_f32_e32 v[32:33], v33
	v_add_co_u32 v13, s0, v15, s4
	v_cvt_f64_f32_e32 v[34:35], v6
	v_add_co_ci_u32_e64 v14, s0, s5, v16, s0
	v_cvt_f32_f64_e32 v15, v[9:10]
	s_waitcnt lgkmcnt(0)
	v_mul_f32_e32 v9, v129, v2
	v_mul_f32_e32 v6, v129, v3
	v_cvt_f32_f64_e32 v16, v[23:24]
	v_cvt_f32_f64_e32 v23, v[11:12]
	v_mov_b32_e32 v22, v31
	v_fma_f32 v9, v128, v3, -v9
	v_fmac_f32_e32 v6, v128, v2
	v_mad_u64_u32 v[2:3], null, 0xfffff160, s8, v[13:14]
	v_cvt_f32_f64_e32 v24, v[25:26]
	v_lshlrev_b64 v[21:22], 3, v[21:22]
	v_cvt_f32_f64_e32 v19, v[19:20]
	v_cvt_f32_f64_e32 v20, v[27:28]
	v_cvt_f64_f32_e32 v[27:28], v9
	ds_read2_b64 v[9:12], v1 offset0:88 offset1:196
	s_mul_i32 s0, s9, 0xfffff160
	global_store_dwordx2 v[13:14], v[29:30], off
	s_sub_i32 s0, s0, s8
	v_mul_f64 v[13:14], v[34:35], s[2:3]
	v_add_nc_u32_e32 v3, s0, v3
	v_add_co_u32 v21, s0, v36, v21
	v_add_co_ci_u32_e64 v22, s0, v37, v22, s0
	v_add_co_u32 v29, s0, v2, s4
	v_add_co_ci_u32_e64 v30, s0, s5, v3, s0
	v_cvt_f64_f32_e32 v[25:26], v6
	global_store_dwordx2 v[21:22], v[15:16], off
	global_store_dwordx2 v[2:3], v[23:24], off
	;; [unrolled: 1-line block ×3, first 2 shown]
	s_waitcnt lgkmcnt(0)
	v_mul_f32_e32 v3, v127, v10
	v_mul_f32_e32 v6, v127, v9
	;; [unrolled: 1-line block ×4, first 2 shown]
	v_mul_f64 v[31:32], v[32:33], s[2:3]
	v_fmac_f32_e32 v3, v126, v9
	v_fma_f32 v6, v126, v10, -v6
	v_fmac_f32_e32 v1, v124, v17
	v_fma_f32 v2, v124, v18, -v2
	v_cvt_f32_f64_e32 v22, v[13:14]
	v_cvt_f64_f32_e32 v[17:18], v3
	v_cvt_f64_f32_e32 v[23:24], v6
	;; [unrolled: 1-line block ×4, first 2 shown]
	ds_read2_b64 v[0:3], v0 offset0:132 offset1:240
	v_mul_f64 v[19:20], v[27:28], s[2:3]
	v_mul_f32_e32 v27, v131, v4
	v_mul_f64 v[15:16], v[25:26], s[2:3]
	v_mul_f32_e32 v6, v131, v5
	v_add_co_u32 v25, s0, v29, s4
	v_fma_f32 v29, v130, v5, -v27
	ds_read_b64 v[27:28], v163 offset:12672
	v_fmac_f32_e32 v6, v130, v4
	v_mul_f32_e32 v35, v115, v8
	v_mul_f32_e32 v33, v119, v11
	v_cvt_f32_f64_e32 v21, v[31:32]
	v_mul_f32_e32 v32, v119, v12
	v_add_co_ci_u32_e64 v26, s0, s5, v30, s0
	v_cvt_f64_f32_e32 v[29:30], v29
	v_fmac_f32_e32 v35, v114, v7
	v_mul_f64 v[4:5], v[17:18], s[2:3]
	v_mul_f64 v[17:18], v[23:24], s[2:3]
	v_cvt_f64_f32_e32 v[23:24], v6
	s_waitcnt lgkmcnt(1)
	v_mul_f32_e32 v6, v117, v1
	v_mul_f32_e32 v31, v117, v0
	v_mul_f64 v[9:10], v[9:10], s[2:3]
	v_mul_f64 v[13:14], v[13:14], s[2:3]
	v_cvt_f32_f64_e32 v15, v[15:16]
	v_fmac_f32_e32 v6, v116, v0
	v_fma_f32 v31, v116, v1, -v31
	v_cvt_f32_f64_e32 v16, v[19:20]
	v_mul_f32_e32 v37, v121, v2
	s_waitcnt lgkmcnt(0)
	v_mul_f32_e32 v38, v123, v28
	v_cvt_f64_f32_e32 v[0:1], v6
	v_mul_f32_e32 v6, v115, v7
	v_mul_f32_e32 v7, v121, v3
	;; [unrolled: 1-line block ×3, first 2 shown]
	v_fmac_f32_e32 v32, v118, v11
	v_fma_f32 v33, v118, v12, -v33
	v_cvt_f64_f32_e32 v[11:12], v31
	v_fma_f32 v6, v114, v8, -v6
	v_fmac_f32_e32 v7, v120, v2
	v_fma_f32 v8, v120, v3, -v37
	v_fmac_f32_e32 v38, v122, v27
	v_fma_f32 v39, v122, v28, -v39
	s_mul_hi_u32 s0, s8, 0xfffffbec
	v_cvt_f64_f32_e32 v[31:32], v32
	v_cvt_f64_f32_e32 v[33:34], v33
	v_cvt_f64_f32_e32 v[35:36], v35
	s_mul_i32 s1, s9, 0xfffffbec
	s_sub_i32 s0, s0, s8
	v_cvt_f64_f32_e32 v[2:3], v6
	v_cvt_f64_f32_e32 v[6:7], v7
	;; [unrolled: 1-line block ×3, first 2 shown]
	s_add_i32 s1, s0, s1
	s_mul_i32 s0, s8, 0xfffffbec
	v_cvt_f64_f32_e32 v[37:38], v38
	v_cvt_f64_f32_e32 v[39:40], v39
	s_lshl_b64 s[6:7], s[0:1], 3
	v_cvt_f32_f64_e32 v8, v[9:10]
	v_add_co_u32 v19, s0, v25, s6
	v_add_co_ci_u32_e64 v20, s0, s7, v26, s0
	v_cvt_f32_f64_e32 v9, v[13:14]
	v_mul_f64 v[13:14], v[23:24], s[2:3]
	global_store_dwordx2 v[25:26], v[21:22], off
	global_store_dwordx2 v[19:20], v[15:16], off
	v_mul_f64 v[15:16], v[29:30], s[2:3]
	v_mul_f64 v[10:11], v[11:12], s[2:3]
	;; [unrolled: 1-line block ×3, first 2 shown]
	v_cvt_f32_f64_e32 v4, v[4:5]
	v_cvt_f32_f64_e32 v5, v[17:18]
	v_mul_f64 v[17:18], v[31:32], s[2:3]
	v_mul_f64 v[21:22], v[33:34], s[2:3]
	;; [unrolled: 1-line block ×3, first 2 shown]
	v_add_co_u32 v19, s0, v19, s4
	v_mul_f64 v[2:3], v[2:3], s[2:3]
	v_mul_f64 v[6:7], v[6:7], s[2:3]
	;; [unrolled: 1-line block ×3, first 2 shown]
	v_add_co_ci_u32_e64 v20, s0, s5, v20, s0
	v_mul_f64 v[27:28], v[37:38], s[2:3]
	v_mul_f64 v[29:30], v[39:40], s[2:3]
	v_add_co_u32 v31, s0, v19, s4
	v_add_co_ci_u32_e64 v32, s0, s5, v20, s0
	v_cvt_f32_f64_e32 v12, v[13:14]
	v_add_co_u32 v14, s0, v31, s6
	v_cvt_f32_f64_e32 v13, v[15:16]
	v_add_co_ci_u32_e64 v15, s0, s7, v32, s0
	v_cvt_f32_f64_e32 v34, v[10:11]
	v_add_co_u32 v10, s0, v14, s4
	v_add_co_ci_u32_e64 v11, s0, s5, v15, s0
	v_cvt_f32_f64_e32 v33, v[0:1]
	v_cvt_f32_f64_e32 v16, v[17:18]
	;; [unrolled: 1-line block ×4, first 2 shown]
	v_add_co_u32 v23, s0, v10, s4
	v_cvt_f32_f64_e32 v22, v[2:3]
	v_add_co_ci_u32_e64 v24, s0, s5, v11, s0
	v_cvt_f32_f64_e32 v2, v[6:7]
	v_cvt_f32_f64_e32 v3, v[25:26]
	v_cvt_f32_f64_e32 v6, v[27:28]
	v_cvt_f32_f64_e32 v7, v[29:30]
	global_store_dwordx2 v[19:20], v[8:9], off
	v_add_co_u32 v8, s0, v23, s6
	v_add_co_ci_u32_e64 v9, s0, s7, v24, s0
	global_store_dwordx2 v[31:32], v[4:5], off
	v_add_co_u32 v4, s0, v8, s4
	v_add_co_ci_u32_e64 v5, s0, s5, v9, s0
	;; [unrolled: 3-line block ×3, first 2 shown]
	global_store_dwordx2 v[10:11], v[33:34], off
	global_store_dwordx2 v[23:24], v[16:17], off
	;; [unrolled: 1-line block ×5, first 2 shown]
	s_and_b32 exec_lo, exec_lo, vcc_lo
	s_cbranch_execz .LBB0_31
; %bb.30:
	global_load_dwordx2 v[6:7], v[110:111], off offset:224
	v_add_nc_u32_e32 v2, 0xe0, v163
	v_add_co_u32 v0, vcc_lo, v0, s6
	v_add_co_ci_u32_e32 v1, vcc_lo, s7, v1, vcc_lo
	ds_read2st64_b64 v[2:5], v2 offset0:8 offset1:17
	s_waitcnt vmcnt(0) lgkmcnt(0)
	v_mul_f32_e32 v8, v3, v7
	v_mul_f32_e32 v7, v2, v7
	v_fmac_f32_e32 v8, v2, v6
	v_fma_f32 v6, v6, v3, -v7
	v_cvt_f64_f32_e32 v[2:3], v8
	v_cvt_f64_f32_e32 v[6:7], v6
	v_mul_f64 v[2:3], v[2:3], s[2:3]
	v_mul_f64 v[6:7], v[6:7], s[2:3]
	v_cvt_f32_f64_e32 v2, v[2:3]
	v_cvt_f32_f64_e32 v3, v[6:7]
	global_store_dwordx2 v[0:1], v[2:3], off
	global_load_dwordx2 v[2:3], v[108:109], off offset:736
	v_add_co_u32 v0, vcc_lo, v0, s4
	v_add_co_ci_u32_e32 v1, vcc_lo, s5, v1, vcc_lo
	s_waitcnt vmcnt(0)
	v_mul_f32_e32 v6, v5, v3
	v_mul_f32_e32 v3, v4, v3
	v_fmac_f32_e32 v6, v4, v2
	v_fma_f32 v4, v2, v5, -v3
	v_cvt_f64_f32_e32 v[2:3], v6
	v_cvt_f64_f32_e32 v[4:5], v4
	v_mul_f64 v[2:3], v[2:3], s[2:3]
	v_mul_f64 v[4:5], v[4:5], s[2:3]
	v_cvt_f32_f64_e32 v2, v[2:3]
	v_cvt_f32_f64_e32 v3, v[4:5]
	ds_read_b64 v[4:5], v163 offset:13536
	global_store_dwordx2 v[0:1], v[2:3], off
	global_load_dwordx2 v[2:3], v[112:113], off offset:1248
	v_add_co_u32 v0, vcc_lo, v0, s4
	v_add_co_ci_u32_e32 v1, vcc_lo, s5, v1, vcc_lo
	s_waitcnt vmcnt(0) lgkmcnt(0)
	v_mul_f32_e32 v6, v5, v3
	v_mul_f32_e32 v3, v4, v3
	v_fmac_f32_e32 v6, v4, v2
	v_fma_f32 v4, v2, v5, -v3
	v_cvt_f64_f32_e32 v[2:3], v6
	v_cvt_f64_f32_e32 v[4:5], v4
	v_mul_f64 v[2:3], v[2:3], s[2:3]
	v_mul_f64 v[4:5], v[4:5], s[2:3]
	v_cvt_f32_f64_e32 v2, v[2:3]
	v_cvt_f32_f64_e32 v3, v[4:5]
	global_store_dwordx2 v[0:1], v[2:3], off
.LBB0_31:
	s_endpgm
	.section	.rodata,"a",@progbits
	.p2align	6, 0x0
	.amdhsa_kernel bluestein_single_fwd_len1728_dim1_sp_op_CI_CI
		.amdhsa_group_segment_fixed_size 13824
		.amdhsa_private_segment_fixed_size 0
		.amdhsa_kernarg_size 104
		.amdhsa_user_sgpr_count 6
		.amdhsa_user_sgpr_private_segment_buffer 1
		.amdhsa_user_sgpr_dispatch_ptr 0
		.amdhsa_user_sgpr_queue_ptr 0
		.amdhsa_user_sgpr_kernarg_segment_ptr 1
		.amdhsa_user_sgpr_dispatch_id 0
		.amdhsa_user_sgpr_flat_scratch_init 0
		.amdhsa_user_sgpr_private_segment_size 0
		.amdhsa_wavefront_size32 1
		.amdhsa_uses_dynamic_stack 0
		.amdhsa_system_sgpr_private_segment_wavefront_offset 0
		.amdhsa_system_sgpr_workgroup_id_x 1
		.amdhsa_system_sgpr_workgroup_id_y 0
		.amdhsa_system_sgpr_workgroup_id_z 0
		.amdhsa_system_sgpr_workgroup_info 0
		.amdhsa_system_vgpr_workitem_id 0
		.amdhsa_next_free_vgpr 230
		.amdhsa_next_free_sgpr 18
		.amdhsa_reserve_vcc 1
		.amdhsa_reserve_flat_scratch 0
		.amdhsa_float_round_mode_32 0
		.amdhsa_float_round_mode_16_64 0
		.amdhsa_float_denorm_mode_32 3
		.amdhsa_float_denorm_mode_16_64 3
		.amdhsa_dx10_clamp 1
		.amdhsa_ieee_mode 1
		.amdhsa_fp16_overflow 0
		.amdhsa_workgroup_processor_mode 1
		.amdhsa_memory_ordered 1
		.amdhsa_forward_progress 0
		.amdhsa_shared_vgpr_count 0
		.amdhsa_exception_fp_ieee_invalid_op 0
		.amdhsa_exception_fp_denorm_src 0
		.amdhsa_exception_fp_ieee_div_zero 0
		.amdhsa_exception_fp_ieee_overflow 0
		.amdhsa_exception_fp_ieee_underflow 0
		.amdhsa_exception_fp_ieee_inexact 0
		.amdhsa_exception_int_div_zero 0
	.end_amdhsa_kernel
	.text
.Lfunc_end0:
	.size	bluestein_single_fwd_len1728_dim1_sp_op_CI_CI, .Lfunc_end0-bluestein_single_fwd_len1728_dim1_sp_op_CI_CI
                                        ; -- End function
	.section	.AMDGPU.csdata,"",@progbits
; Kernel info:
; codeLenInByte = 14928
; NumSgprs: 20
; NumVgprs: 230
; ScratchSize: 0
; MemoryBound: 0
; FloatMode: 240
; IeeeMode: 1
; LDSByteSize: 13824 bytes/workgroup (compile time only)
; SGPRBlocks: 2
; VGPRBlocks: 28
; NumSGPRsForWavesPerEU: 20
; NumVGPRsForWavesPerEU: 230
; Occupancy: 4
; WaveLimiterHint : 1
; COMPUTE_PGM_RSRC2:SCRATCH_EN: 0
; COMPUTE_PGM_RSRC2:USER_SGPR: 6
; COMPUTE_PGM_RSRC2:TRAP_HANDLER: 0
; COMPUTE_PGM_RSRC2:TGID_X_EN: 1
; COMPUTE_PGM_RSRC2:TGID_Y_EN: 0
; COMPUTE_PGM_RSRC2:TGID_Z_EN: 0
; COMPUTE_PGM_RSRC2:TIDIG_COMP_CNT: 0
	.text
	.p2alignl 6, 3214868480
	.fill 48, 4, 3214868480
	.type	__hip_cuid_3c44a5b1c965a290,@object ; @__hip_cuid_3c44a5b1c965a290
	.section	.bss,"aw",@nobits
	.globl	__hip_cuid_3c44a5b1c965a290
__hip_cuid_3c44a5b1c965a290:
	.byte	0                               ; 0x0
	.size	__hip_cuid_3c44a5b1c965a290, 1

	.ident	"AMD clang version 19.0.0git (https://github.com/RadeonOpenCompute/llvm-project roc-6.4.0 25133 c7fe45cf4b819c5991fe208aaa96edf142730f1d)"
	.section	".note.GNU-stack","",@progbits
	.addrsig
	.addrsig_sym __hip_cuid_3c44a5b1c965a290
	.amdgpu_metadata
---
amdhsa.kernels:
  - .args:
      - .actual_access:  read_only
        .address_space:  global
        .offset:         0
        .size:           8
        .value_kind:     global_buffer
      - .actual_access:  read_only
        .address_space:  global
        .offset:         8
        .size:           8
        .value_kind:     global_buffer
      - .actual_access:  read_only
        .address_space:  global
        .offset:         16
        .size:           8
        .value_kind:     global_buffer
      - .actual_access:  read_only
        .address_space:  global
        .offset:         24
        .size:           8
        .value_kind:     global_buffer
      - .actual_access:  read_only
        .address_space:  global
        .offset:         32
        .size:           8
        .value_kind:     global_buffer
      - .offset:         40
        .size:           8
        .value_kind:     by_value
      - .address_space:  global
        .offset:         48
        .size:           8
        .value_kind:     global_buffer
      - .address_space:  global
        .offset:         56
        .size:           8
        .value_kind:     global_buffer
      - .address_space:  global
        .offset:         64
        .size:           8
        .value_kind:     global_buffer
      - .address_space:  global
        .offset:         72
        .size:           8
        .value_kind:     global_buffer
      - .offset:         80
        .size:           4
        .value_kind:     by_value
      - .address_space:  global
        .offset:         88
        .size:           8
        .value_kind:     global_buffer
      - .address_space:  global
        .offset:         96
        .size:           8
        .value_kind:     global_buffer
    .group_segment_fixed_size: 13824
    .kernarg_segment_align: 8
    .kernarg_segment_size: 104
    .language:       OpenCL C
    .language_version:
      - 2
      - 0
    .max_flat_workgroup_size: 108
    .name:           bluestein_single_fwd_len1728_dim1_sp_op_CI_CI
    .private_segment_fixed_size: 0
    .sgpr_count:     20
    .sgpr_spill_count: 0
    .symbol:         bluestein_single_fwd_len1728_dim1_sp_op_CI_CI.kd
    .uniform_work_group_size: 1
    .uses_dynamic_stack: false
    .vgpr_count:     230
    .vgpr_spill_count: 0
    .wavefront_size: 32
    .workgroup_processor_mode: 1
amdhsa.target:   amdgcn-amd-amdhsa--gfx1030
amdhsa.version:
  - 1
  - 2
...

	.end_amdgpu_metadata
